;; amdgpu-corpus repo=ROCm/rocFFT kind=compiled arch=gfx950 opt=O3
	.text
	.amdgcn_target "amdgcn-amd-amdhsa--gfx950"
	.amdhsa_code_object_version 6
	.protected	bluestein_single_back_len1320_dim1_dp_op_CI_CI ; -- Begin function bluestein_single_back_len1320_dim1_dp_op_CI_CI
	.globl	bluestein_single_back_len1320_dim1_dp_op_CI_CI
	.p2align	8
	.type	bluestein_single_back_len1320_dim1_dp_op_CI_CI,@function
bluestein_single_back_len1320_dim1_dp_op_CI_CI: ; @bluestein_single_back_len1320_dim1_dp_op_CI_CI
; %bb.0:
	s_load_dwordx4 s[12:15], s[0:1], 0x28
	v_mul_u32_u24_e32 v1, 0x18e, v0
	v_mov_b32_e32 v161, 0
	v_add_u32_sdwa v238, s2, v1 dst_sel:DWORD dst_unused:UNUSED_PAD src0_sel:DWORD src1_sel:WORD_1
	v_mov_b32_e32 v239, v161
	s_waitcnt lgkmcnt(0)
	v_cmp_gt_u64_e32 vcc, s[12:13], v[238:239]
	s_and_saveexec_b64 s[2:3], vcc
	s_cbranch_execz .LBB0_31
; %bb.1:
	s_load_dwordx2 s[16:17], s[0:1], 0x0
	s_load_dwordx2 s[12:13], s[0:1], 0x38
	s_movk_i32 s2, 0xa5
	v_mul_lo_u16_sdwa v1, v1, s2 dst_sel:DWORD dst_unused:UNUSED_PAD src0_sel:WORD_1 src1_sel:DWORD
	v_sub_u16_e32 v160, v0, v1
	s_movk_i32 s2, 0x78
	v_cmp_gt_u16_e64 s[6:7], s2, v160
	v_lshlrev_b32_e32 v156, 4, v160
	s_and_saveexec_b64 s[2:3], s[6:7]
	s_cbranch_execz .LBB0_3
; %bb.2:
	s_load_dwordx2 s[4:5], s[0:1], 0x18
	v_mov_b32_e32 v0, s14
	v_mov_b32_e32 v1, s15
	;; [unrolled: 1-line block ×4, first 2 shown]
	s_waitcnt lgkmcnt(0)
	s_load_dwordx4 s[8:11], s[4:5], 0x0
	s_waitcnt lgkmcnt(0)
	v_mad_u64_u32 v[2:3], s[4:5], s10, v238, 0
	v_mad_u64_u32 v[4:5], s[4:5], s8, v160, 0
	v_mov_b32_e32 v6, v3
	v_mov_b32_e32 v8, v5
	v_mad_u64_u32 v[6:7], s[4:5], s11, v238, v[6:7]
	v_mov_b32_e32 v3, v6
	v_mad_u64_u32 v[6:7], s[4:5], s9, v160, v[8:9]
	v_mov_b32_e32 v5, v6
	v_lshl_add_u64 v[0:1], v[2:3], 4, v[0:1]
	v_lshl_add_u64 v[4:5], v[4:5], 4, v[0:1]
	v_mad_u64_u32 v[24:25], s[4:5], s8, v82, v[4:5]
	s_mul_i32 s4, s9, 0x780
	s_nop 0
	v_add_u32_e32 v25, s4, v25
	v_mad_u64_u32 v[26:27], s[10:11], s8, v82, v[24:25]
	global_load_dwordx4 v[0:3], v[4:5], off
	s_nop 0
	global_load_dwordx4 v[4:7], v156, s[16:17]
	global_load_dwordx4 v[8:11], v156, s[16:17] offset:1920
	global_load_dwordx4 v[12:15], v156, s[16:17] offset:3840
	v_add_u32_e32 v27, s4, v27
	global_load_dwordx4 v[20:23], v[24:25], off
	global_load_dwordx4 v[16:19], v[26:27], off
	s_movk_i32 s5, 0x1000
	v_lshl_add_u64 v[24:25], s[16:17], 0, v[156:157]
	v_add_co_u32_e32 v36, vcc, s5, v24
	s_movk_i32 s9, 0x2000
	s_nop 0
	v_addc_co_u32_e32 v37, vcc, 0, v25, vcc
	v_add_co_u32_e32 v52, vcc, s9, v24
	s_movk_i32 s10, 0x3000
	s_nop 0
	v_addc_co_u32_e32 v53, vcc, 0, v25, vcc
	;; [unrolled: 4-line block ×3, first 2 shown]
	v_add_co_u32_e32 v88, vcc, s11, v24
	v_mad_u64_u32 v[38:39], s[10:11], s8, v82, v[26:27]
	v_add_u32_e32 v39, s4, v39
	v_mad_u64_u32 v[40:41], s[10:11], s8, v82, v[38:39]
	v_addc_co_u32_e32 v89, vcc, 0, v25, vcc
	global_load_dwordx4 v[24:27], v[38:39], off
	global_load_dwordx4 v[28:31], v[36:37], off offset:1664
	global_load_dwordx4 v[32:35], v[36:37], off offset:3584
	v_add_u32_e32 v41, s4, v41
	global_load_dwordx4 v[36:39], v[40:41], off
	v_mad_u64_u32 v[54:55], s[10:11], s8, v82, v[40:41]
	v_add_u32_e32 v55, s4, v55
	v_mad_u64_u32 v[56:57], s[10:11], s8, v82, v[54:55]
	global_load_dwordx4 v[40:43], v[54:55], off
	global_load_dwordx4 v[44:47], v[52:53], off offset:1408
	global_load_dwordx4 v[48:51], v[52:53], off offset:3328
	v_add_u32_e32 v57, s4, v57
	global_load_dwordx4 v[52:55], v[56:57], off
	v_mad_u64_u32 v[70:71], s[10:11], s8, v82, v[56:57]
	v_add_u32_e32 v71, s4, v71
	v_mad_u64_u32 v[72:73], s[10:11], s8, v82, v[70:71]
	global_load_dwordx4 v[56:59], v[70:71], off
	global_load_dwordx4 v[60:63], v[68:69], off offset:1152
	global_load_dwordx4 v[64:67], v[68:69], off offset:3072
	v_add_u32_e32 v73, s4, v73
	global_load_dwordx4 v[68:71], v[72:73], off
	v_mad_u64_u32 v[80:81], s[10:11], s8, v82, v[72:73]
	v_add_u32_e32 v81, s4, v81
	global_load_dwordx4 v[72:75], v[80:81], off
	global_load_dwordx4 v[76:79], v[88:89], off offset:896
	v_mad_u64_u32 v[90:91], s[8:9], s8, v82, v[80:81]
	v_add_u32_e32 v91, s4, v91
	global_load_dwordx4 v[80:83], v[88:89], off offset:2816
	global_load_dwordx4 v[84:87], v[90:91], off
	s_waitcnt vmcnt(20)
	v_mul_f64 v[88:89], v[2:3], v[6:7]
	v_mul_f64 v[90:91], v[0:1], v[6:7]
	v_fmac_f64_e32 v[88:89], v[0:1], v[4:5]
	s_waitcnt vmcnt(17)
	v_mul_f64 v[0:1], v[20:21], v[10:11]
	v_fma_f64 v[90:91], v[2:3], v[4:5], -v[90:91]
	v_fma_f64 v[2:3], v[22:23], v[8:9], -v[0:1]
	v_mul_f64 v[0:1], v[22:23], v[10:11]
	v_fmac_f64_e32 v[0:1], v[20:21], v[8:9]
	ds_write_b128 v156, v[88:91]
	ds_write_b128 v156, v[0:3] offset:1920
	s_waitcnt vmcnt(16)
	v_mul_f64 v[0:1], v[16:17], v[14:15]
	v_fma_f64 v[2:3], v[18:19], v[12:13], -v[0:1]
	v_mul_f64 v[0:1], v[18:19], v[14:15]
	v_fmac_f64_e32 v[0:1], v[16:17], v[12:13]
	ds_write_b128 v156, v[0:3] offset:3840
	s_waitcnt vmcnt(14)
	v_mul_f64 v[0:1], v[26:27], v[30:31]
	v_mul_f64 v[2:3], v[24:25], v[30:31]
	v_fmac_f64_e32 v[0:1], v[24:25], v[28:29]
	v_fma_f64 v[2:3], v[26:27], v[28:29], -v[2:3]
	ds_write_b128 v156, v[0:3] offset:5760
	s_waitcnt vmcnt(12)
	v_mul_f64 v[0:1], v[38:39], v[34:35]
	v_mul_f64 v[2:3], v[36:37], v[34:35]
	v_fmac_f64_e32 v[0:1], v[36:37], v[32:33]
	v_fma_f64 v[2:3], v[38:39], v[32:33], -v[2:3]
	;; [unrolled: 6-line block ×8, first 2 shown]
	ds_write_b128 v156, v[0:3] offset:19200
.LBB0_3:
	s_or_b64 exec, exec, s[2:3]
	s_load_dwordx2 s[2:3], s[0:1], 0x20
	s_load_dwordx2 s[14:15], s[0:1], 0x8
	s_waitcnt lgkmcnt(0)
	s_barrier
	s_waitcnt lgkmcnt(0)
                                        ; implicit-def: $vgpr4_vgpr5
                                        ; implicit-def: $vgpr12_vgpr13
                                        ; implicit-def: $vgpr20_vgpr21
                                        ; implicit-def: $vgpr36_vgpr37
                                        ; implicit-def: $vgpr40_vgpr41
                                        ; implicit-def: $vgpr44_vgpr45
                                        ; implicit-def: $vgpr48_vgpr49
                                        ; implicit-def: $vgpr32_vgpr33
                                        ; implicit-def: $vgpr24_vgpr25
                                        ; implicit-def: $vgpr16_vgpr17
                                        ; implicit-def: $vgpr8_vgpr9
	s_and_saveexec_b64 s[0:1], s[6:7]
	s_cbranch_execz .LBB0_5
; %bb.4:
	ds_read_b128 v[4:7], v156
	ds_read_b128 v[8:11], v156 offset:1920
	ds_read_b128 v[16:19], v156 offset:3840
	;; [unrolled: 1-line block ×10, first 2 shown]
.LBB0_5:
	s_or_b64 exec, exec, s[0:1]
	s_mov_b32 s10, 0xf8bb580b
	s_waitcnt lgkmcnt(0)
	v_add_f64 v[86:87], v[10:11], -v[50:51]
	s_mov_b32 s0, 0x8764f0ba
	s_mov_b32 s11, 0xbfe14ced
	;; [unrolled: 1-line block ×3, first 2 shown]
	v_add_f64 v[64:65], v[48:49], v[8:9]
	v_add_f64 v[72:73], v[8:9], -v[48:49]
	s_mov_b32 s1, 0x3feaeb8c
	v_mul_f64 v[56:57], v[86:87], s[10:11]
	s_mov_b32 s4, 0xd9c712b6
	s_mov_b32 s21, 0xbfed1bb4
	v_add_f64 v[106:107], v[18:19], -v[46:47]
	v_add_f64 v[66:67], v[50:51], v[10:11]
	v_mul_f64 v[58:59], v[72:73], s[10:11]
	v_fma_f64 v[0:1], s[0:1], v[64:65], v[56:57]
	s_mov_b32 s5, 0x3fda9628
	s_mov_b32 s26, 0x43842ef
	v_add_f64 v[74:75], v[44:45], v[16:17]
	v_add_f64 v[94:95], v[16:17], -v[44:45]
	v_mul_f64 v[60:61], v[106:107], s[20:21]
	v_add_f64 v[0:1], v[4:5], v[0:1]
	v_fma_f64 v[2:3], v[66:67], s[0:1], -v[58:59]
	s_mov_b32 s8, 0x640f44db
	s_mov_b32 s27, 0xbfefac9e
	v_add_f64 v[80:81], v[46:47], v[18:19]
	v_mul_f64 v[62:63], v[94:95], s[20:21]
	v_fma_f64 v[28:29], s[4:5], v[74:75], v[60:61]
	v_add_f64 v[128:129], v[14:15], -v[42:43]
	v_add_f64 v[2:3], v[6:7], v[2:3]
	s_mov_b32 s9, 0xbfc2375f
	v_add_f64 v[0:1], v[28:29], v[0:1]
	v_fma_f64 v[28:29], v[80:81], s[4:5], -v[62:63]
	v_add_f64 v[88:89], v[12:13], v[40:41]
	v_mul_f64 v[68:69], v[128:129], s[26:27]
	v_add_f64 v[122:123], v[12:13], -v[40:41]
	s_mov_b32 s28, 0xbb3a28a1
	v_add_f64 v[2:3], v[28:29], v[2:3]
	v_fma_f64 v[28:29], s[8:9], v[88:89], v[68:69]
	v_add_f64 v[90:91], v[14:15], v[42:43]
	v_mul_f64 v[70:71], v[122:123], s[26:27]
	s_mov_b32 s22, 0x7f775887
	s_mov_b32 s29, 0xbfe82f19
	v_add_f64 v[136:137], v[22:23], -v[38:39]
	v_add_f64 v[0:1], v[28:29], v[0:1]
	v_fma_f64 v[28:29], v[90:91], s[8:9], -v[70:71]
	s_mov_b32 s23, 0xbfe4f49e
	v_add_f64 v[96:97], v[20:21], v[36:37]
	v_mul_f64 v[82:83], v[136:137], s[28:29]
	v_add_f64 v[132:133], v[20:21], -v[36:37]
	s_mov_b32 s34, 0xfd768dbf
	v_add_f64 v[2:3], v[28:29], v[2:3]
	v_fma_f64 v[28:29], s[22:23], v[96:97], v[82:83]
	v_add_f64 v[98:99], v[22:23], v[38:39]
	v_mul_f64 v[84:85], v[132:133], s[28:29]
	s_mov_b32 s24, 0x9bcd5057
	s_mov_b32 s35, 0x3fd207e7
	;; [unrolled: 1-line block ×4, first 2 shown]
	v_add_f64 v[146:147], v[26:27], -v[34:35]
	v_add_f64 v[0:1], v[28:29], v[0:1]
	v_fma_f64 v[28:29], v[98:99], s[22:23], -v[84:85]
	s_mov_b32 s25, 0xbfeeb42a
	v_add_f64 v[108:109], v[32:33], v[24:25]
	v_mul_f64 v[92:93], v[146:147], s[30:31]
	v_add_f64 v[148:149], v[24:25], -v[32:33]
	v_add_f64 v[2:3], v[28:29], v[2:3]
	v_fma_f64 v[28:29], s[24:25], v[108:109], v[92:93]
	v_add_f64 v[112:113], v[34:35], v[26:27]
	v_mul_f64 v[100:101], v[148:149], s[30:31]
	v_add_f64 v[240:241], v[28:29], v[0:1]
	v_fma_f64 v[28:29], v[112:113], s[24:25], -v[100:101]
	v_mul_f64 v[102:103], v[86:87], s[20:21]
	v_add_f64 v[242:243], v[28:29], v[2:3]
	v_fma_f64 v[28:29], s[4:5], v[64:65], v[102:103]
	v_mul_f64 v[104:105], v[106:107], s[28:29]
	v_add_f64 v[28:29], v[4:5], v[28:29]
	v_fma_f64 v[30:31], s[22:23], v[74:75], v[104:105]
	v_mul_f64 v[114:115], v[72:73], s[20:21]
	v_add_f64 v[28:29], v[30:31], v[28:29]
	v_fma_f64 v[30:31], v[66:67], s[4:5], -v[114:115]
	v_mul_f64 v[116:117], v[94:95], s[28:29]
	v_add_f64 v[30:31], v[6:7], v[30:31]
	v_fma_f64 v[52:53], v[80:81], s[22:23], -v[116:117]
	v_mul_f64 v[110:111], v[128:129], s[34:35]
	v_add_f64 v[30:31], v[52:53], v[30:31]
	v_fma_f64 v[52:53], s[24:25], v[88:89], v[110:111]
	v_mul_f64 v[120:121], v[122:123], s[34:35]
	s_mov_b32 s37, 0x3fefac9e
	s_mov_b32 s36, s26
	v_add_f64 v[28:29], v[52:53], v[28:29]
	v_fma_f64 v[52:53], v[90:91], s[24:25], -v[120:121]
	v_mul_f64 v[118:119], v[136:137], s[36:37]
	v_add_f64 v[30:31], v[52:53], v[30:31]
	v_fma_f64 v[52:53], s[8:9], v[96:97], v[118:119]
	v_mul_f64 v[126:127], v[132:133], s[36:37]
	s_mov_b32 s41, 0x3fe14ced
	s_mov_b32 s40, s10
	v_add_f64 v[28:29], v[52:53], v[28:29]
	v_fma_f64 v[52:53], v[98:99], s[8:9], -v[126:127]
	v_mul_f64 v[124:125], v[146:147], s[40:41]
	v_add_f64 v[30:31], v[52:53], v[30:31]
	v_fma_f64 v[52:53], s[0:1], v[108:109], v[124:125]
	v_mul_f64 v[130:131], v[148:149], s[40:41]
	v_add_f64 v[76:77], v[52:53], v[28:29]
	v_fma_f64 v[28:29], v[112:113], s[0:1], -v[130:131]
	v_mul_f64 v[134:135], v[86:87], s[26:27]
	v_add_f64 v[78:79], v[28:29], v[30:31]
	v_fma_f64 v[28:29], s[8:9], v[64:65], v[134:135]
	v_mul_f64 v[138:139], v[106:107], s[34:35]
	v_add_f64 v[28:29], v[4:5], v[28:29]
	v_fma_f64 v[30:31], s[24:25], v[74:75], v[138:139]
	v_mul_f64 v[144:145], v[72:73], s[26:27]
	v_add_f64 v[28:29], v[30:31], v[28:29]
	v_fma_f64 v[30:31], v[66:67], s[8:9], -v[144:145]
	v_mul_f64 v[150:151], v[94:95], s[34:35]
	s_mov_b32 s39, 0x3fed1bb4
	s_mov_b32 s38, s20
	v_add_f64 v[30:31], v[6:7], v[30:31]
	v_fma_f64 v[52:53], v[80:81], s[24:25], -v[150:151]
	v_mul_f64 v[140:141], v[128:129], s[38:39]
	v_add_f64 v[30:31], v[52:53], v[30:31]
	v_fma_f64 v[52:53], s[4:5], v[88:89], v[140:141]
	v_mul_f64 v[154:155], v[122:123], s[38:39]
	v_add_f64 v[28:29], v[52:53], v[28:29]
	v_fma_f64 v[52:53], v[90:91], s[4:5], -v[154:155]
	v_mul_f64 v[142:143], v[136:137], s[10:11]
	v_add_f64 v[30:31], v[52:53], v[30:31]
	v_fma_f64 v[52:53], s[0:1], v[96:97], v[142:143]
	v_mul_f64 v[162:163], v[132:133], s[10:11]
	;; [unrolled: 6-line block ×3, first 2 shown]
	v_add_f64 v[28:29], v[52:53], v[28:29]
	v_fma_f64 v[52:53], v[112:113], s[22:23], -v[164:165]
	v_add_f64 v[30:31], v[52:53], v[30:31]
	v_mul_lo_u16_e32 v157, 11, v160
	s_barrier
	s_and_saveexec_b64 s[18:19], s[6:7]
	s_cbranch_execz .LBB0_7
; %bb.6:
	v_mul_f64 v[168:169], v[66:67], s[24:25]
	v_mul_f64 v[166:167], v[80:81], s[0:1]
	v_fma_f64 v[52:53], s[34:35], v[72:73], v[168:169]
	v_add_f64 v[52:53], v[6:7], v[52:53]
	v_fma_f64 v[54:55], s[10:11], v[94:95], v[166:167]
	s_mov_b32 s43, 0x3fe82f19
	s_mov_b32 s42, s28
	v_mul_f64 v[170:171], v[90:91], s[22:23]
	v_add_f64 v[52:53], v[54:55], v[52:53]
	v_fma_f64 v[54:55], s[42:43], v[122:123], v[170:171]
	v_mul_f64 v[172:173], v[98:99], s[4:5]
	v_add_f64 v[52:53], v[54:55], v[52:53]
	v_fma_f64 v[54:55], s[20:21], v[132:133], v[172:173]
	;; [unrolled: 3-line block ×3, first 2 shown]
	v_mul_f64 v[176:177], v[106:107], s[40:41]
	v_fmac_f64_e32 v[168:169], s[30:31], v[72:73]
	v_add_f64 v[54:55], v[4:5], v[54:55]
	v_fma_f64 v[178:179], s[0:1], v[74:75], v[176:177]
	v_fmac_f64_e32 v[166:167], s[40:41], v[94:95]
	v_add_f64 v[168:169], v[6:7], v[168:169]
	v_add_f64 v[54:55], v[178:179], v[54:55]
	v_mul_f64 v[178:179], v[128:129], s[28:29]
	v_add_f64 v[166:167], v[166:167], v[168:169]
	v_fmac_f64_e32 v[170:171], s[28:29], v[122:123]
	v_fma_f64 v[180:181], s[22:23], v[88:89], v[178:179]
	v_add_f64 v[166:167], v[170:171], v[166:167]
	v_fma_f64 v[170:171], v[64:65], s[24:25], -v[174:175]
	v_add_f64 v[54:55], v[180:181], v[54:55]
	v_mul_f64 v[180:181], v[136:137], s[38:39]
	v_fma_f64 v[168:169], v[74:75], s[0:1], -v[176:177]
	v_add_f64 v[170:171], v[4:5], v[170:171]
	v_fma_f64 v[182:183], s[4:5], v[96:97], v[180:181]
	v_mul_f64 v[184:185], v[112:113], s[8:9]
	v_fmac_f64_e32 v[172:173], s[38:39], v[132:133]
	v_add_f64 v[168:169], v[168:169], v[170:171]
	v_fma_f64 v[170:171], v[88:89], s[22:23], -v[178:179]
	v_add_f64 v[182:183], v[182:183], v[54:55]
	v_fma_f64 v[54:55], s[36:37], v[148:149], v[184:185]
	v_mul_f64 v[186:187], v[146:147], s[26:27]
	v_add_f64 v[166:167], v[172:173], v[166:167]
	v_add_f64 v[168:169], v[170:171], v[168:169]
	v_fma_f64 v[170:171], v[96:97], s[4:5], -v[180:181]
	v_fmac_f64_e32 v[184:185], s[26:27], v[148:149]
	v_add_f64 v[170:171], v[170:171], v[168:169]
	v_add_f64 v[168:169], v[184:185], v[166:167]
	v_fma_f64 v[166:167], v[108:109], s[8:9], -v[186:187]
	v_mul_f64 v[174:175], v[66:67], s[22:23]
	v_add_f64 v[166:167], v[166:167], v[170:171]
	v_fma_f64 v[170:171], s[42:43], v[72:73], v[174:175]
	v_mul_f64 v[176:177], v[80:81], s[8:9]
	v_add_f64 v[170:171], v[6:7], v[170:171]
	v_fma_f64 v[172:173], s[26:27], v[94:95], v[176:177]
	;; [unrolled: 3-line block ×5, first 2 shown]
	v_add_f64 v[170:171], v[172:173], v[170:171]
	v_mul_f64 v[106:107], v[106:107], s[36:37]
	v_fma_f64 v[172:173], s[22:23], v[64:65], v[86:87]
	v_fmac_f64_e32 v[174:175], s[28:29], v[72:73]
	v_add_f64 v[52:53], v[52:53], v[182:183]
	v_add_f64 v[172:173], v[4:5], v[172:173]
	v_fma_f64 v[182:183], s[8:9], v[74:75], v[106:107]
	v_mul_f64 v[128:129], v[128:129], s[10:11]
	v_fmac_f64_e32 v[176:177], s[36:37], v[94:95]
	v_add_f64 v[72:73], v[6:7], v[174:175]
	v_fma_f64 v[86:87], v[64:65], s[22:23], -v[86:87]
	v_add_f64 v[172:173], v[182:183], v[172:173]
	v_fma_f64 v[182:183], s[0:1], v[88:89], v[128:129]
	v_mul_f64 v[136:137], v[136:137], s[30:31]
	v_fmac_f64_e32 v[178:179], s[10:11], v[122:123]
	v_add_f64 v[72:73], v[176:177], v[72:73]
	v_fma_f64 v[94:95], v[74:75], s[8:9], -v[106:107]
	v_add_f64 v[86:87], v[4:5], v[86:87]
	v_add_f64 v[172:173], v[182:183], v[172:173]
	v_fma_f64 v[182:183], s[24:25], v[96:97], v[136:137]
	v_mul_f64 v[184:185], v[112:113], s[4:5]
	v_fmac_f64_e32 v[180:181], s[30:31], v[132:133]
	v_add_f64 v[72:73], v[178:179], v[72:73]
	v_add_f64 v[86:87], v[94:95], v[86:87]
	v_fma_f64 v[106:107], v[88:89], s[0:1], -v[128:129]
	v_add_f64 v[182:183], v[182:183], v[172:173]
	v_fma_f64 v[172:173], s[20:21], v[148:149], v[184:185]
	v_mul_f64 v[146:147], v[146:147], s[38:39]
	v_fmac_f64_e32 v[184:185], s[38:39], v[148:149]
	v_add_f64 v[72:73], v[180:181], v[72:73]
	v_add_f64 v[86:87], v[106:107], v[86:87]
	v_fma_f64 v[122:123], v[96:97], s[24:25], -v[136:137]
	v_add_f64 v[86:87], v[122:123], v[86:87]
	v_add_f64 v[148:149], v[184:185], v[72:73]
	v_fma_f64 v[72:73], v[108:109], s[4:5], -v[146:147]
	v_add_f64 v[172:173], v[172:173], v[170:171]
	v_fma_f64 v[170:171], s[4:5], v[108:109], v[146:147]
	v_mul_f64 v[106:107], v[66:67], s[0:1]
	v_add_f64 v[146:147], v[72:73], v[86:87]
	v_mul_f64 v[72:73], v[66:67], s[4:5]
	v_mul_f64 v[66:67], v[66:67], s[8:9]
	;; [unrolled: 1-line block ×3, first 2 shown]
	v_add_f64 v[66:67], v[144:145], v[66:67]
	v_mul_f64 v[132:133], v[90:91], s[4:5]
	v_add_f64 v[136:137], v[150:151], v[136:137]
	v_add_f64 v[66:67], v[6:7], v[66:67]
	v_mul_f64 v[128:129], v[98:99], s[0:1]
	v_add_f64 v[132:133], v[154:155], v[132:133]
	v_add_f64 v[66:67], v[136:137], v[66:67]
	;; [unrolled: 1-line block ×5, first 2 shown]
	v_mul_f64 v[128:129], v[108:109], s[22:23]
	v_add_f64 v[128:129], v[128:129], -v[152:153]
	v_mul_f64 v[152:153], v[96:97], s[0:1]
	v_mul_f64 v[144:145], v[80:81], s[4:5]
	;; [unrolled: 1-line block ×3, first 2 shown]
	v_add_f64 v[142:143], v[152:153], -v[142:143]
	v_mul_f64 v[152:153], v[88:89], s[4:5]
	v_add_f64 v[72:73], v[114:115], v[72:73]
	v_add_f64 v[140:141], v[152:153], -v[140:141]
	v_mul_f64 v[152:153], v[90:91], s[8:9]
	v_mul_f64 v[90:91], v[90:91], s[24:25]
	v_add_f64 v[80:81], v[116:117], v[80:81]
	v_add_f64 v[72:73], v[6:7], v[72:73]
	v_mul_f64 v[94:95], v[64:65], s[0:1]
	v_mul_f64 v[122:123], v[64:65], s[4:5]
	;; [unrolled: 1-line block ×3, first 2 shown]
	v_add_f64 v[90:91], v[120:121], v[90:91]
	v_add_f64 v[72:73], v[80:81], v[72:73]
	v_add_f64 v[64:65], v[64:65], -v[134:135]
	v_add_f64 v[72:73], v[90:91], v[72:73]
	v_add_f64 v[90:91], v[122:123], -v[102:103]
	;; [unrolled: 2-line block ×3, first 2 shown]
	v_add_f64 v[64:65], v[4:5], v[64:65]
	v_add_f64 v[90:91], v[4:5], v[90:91]
	;; [unrolled: 1-line block ×8, first 2 shown]
	v_mul_f64 v[86:87], v[112:113], s[22:23]
	v_add_f64 v[6:7], v[14:15], v[6:7]
	v_add_f64 v[4:5], v[12:13], v[4:5]
	;; [unrolled: 1-line block ×3, first 2 shown]
	v_mul_f64 v[134:135], v[98:99], s[22:23]
	v_mul_f64 v[98:99], v[98:99], s[8:9]
	v_add_f64 v[6:7], v[22:23], v[6:7]
	v_add_f64 v[4:5], v[20:21], v[4:5]
	v_mul_f64 v[150:151], v[74:75], s[4:5]
	v_mul_f64 v[136:137], v[74:75], s[22:23]
	;; [unrolled: 1-line block ×5, first 2 shown]
	v_add_f64 v[66:67], v[86:87], v[66:67]
	v_add_f64 v[86:87], v[126:127], v[98:99]
	v_add_f64 v[6:7], v[26:27], v[6:7]
	v_add_f64 v[4:5], v[24:25], v[4:5]
	v_add_f64 v[74:75], v[74:75], -v[138:139]
	v_add_f64 v[72:73], v[86:87], v[72:73]
	v_add_f64 v[86:87], v[88:89], -v[110:111]
	v_add_f64 v[88:89], v[136:137], -v[104:105]
	v_add_f64 v[6:7], v[34:35], v[6:7]
	v_add_f64 v[4:5], v[32:33], v[4:5]
	v_mul_f64 v[138:139], v[96:97], s[22:23]
	v_mul_f64 v[96:97], v[96:97], s[8:9]
	v_add_f64 v[64:65], v[74:75], v[64:65]
	v_mul_f64 v[74:75], v[112:113], s[0:1]
	v_add_f64 v[88:89], v[88:89], v[90:91]
	v_add_f64 v[62:63], v[62:63], v[144:145]
	v_add_f64 v[60:61], v[150:151], -v[60:61]
	v_add_f64 v[6:7], v[38:39], v[6:7]
	v_add_f64 v[4:5], v[36:37], v[4:5]
	v_mul_f64 v[154:155], v[108:109], s[24:25]
	v_mul_f64 v[108:109], v[108:109], s[0:1]
	v_add_f64 v[74:75], v[130:131], v[74:75]
	v_add_f64 v[80:81], v[96:97], -v[118:119]
	v_add_f64 v[86:87], v[86:87], v[88:89]
	v_add_f64 v[70:71], v[70:71], v[152:153]
	;; [unrolled: 1-line block ×3, first 2 shown]
	v_add_f64 v[68:69], v[132:133], -v[68:69]
	v_add_f64 v[56:57], v[60:61], v[56:57]
	v_add_f64 v[6:7], v[42:43], v[6:7]
	;; [unrolled: 1-line block ×4, first 2 shown]
	v_mul_f64 v[140:141], v[112:113], s[24:25]
	v_add_f64 v[74:75], v[74:75], v[72:73]
	v_add_f64 v[72:73], v[108:109], -v[124:125]
	v_add_f64 v[80:81], v[80:81], v[86:87]
	v_add_f64 v[84:85], v[84:85], v[134:135]
	;; [unrolled: 1-line block ×3, first 2 shown]
	v_add_f64 v[70:71], v[138:139], -v[82:83]
	v_add_f64 v[56:57], v[68:69], v[56:57]
	v_add_f64 v[6:7], v[46:47], v[6:7]
	v_add_f64 v[4:5], v[44:45], v[4:5]
	v_add_f64 v[64:65], v[142:143], v[64:65]
	v_add_f64 v[72:73], v[72:73], v[80:81]
	v_add_f64 v[80:81], v[100:101], v[140:141]
	v_add_f64 v[58:59], v[84:85], v[58:59]
	v_add_f64 v[62:63], v[154:155], -v[92:93]
	v_add_f64 v[56:57], v[70:71], v[56:57]
	v_add_f64 v[6:7], v[50:51], v[6:7]
	;; [unrolled: 1-line block ×3, first 2 shown]
	v_lshlrev_b32_e32 v0, 4, v157
	v_add_f64 v[170:171], v[170:171], v[182:183]
	v_add_f64 v[64:65], v[128:129], v[64:65]
	;; [unrolled: 1-line block ×4, first 2 shown]
	ds_write_b128 v0, v[4:7]
	ds_write_b128 v0, v[56:59] offset:16
	ds_write_b128 v0, v[72:75] offset:32
	;; [unrolled: 1-line block ×10, first 2 shown]
.LBB0_7:
	s_or_b64 exec, exec, s[18:19]
	s_mov_b64 s[0:1], 0x1ef
	v_lshl_add_u64 v[4:5], v[160:161], 0, s[0:1]
	s_movk_i32 s0, 0x75
	v_add_u16_e32 v73, 0x14a, v160
	v_mul_lo_u16_sdwa v0, v160, s0 dst_sel:DWORD dst_unused:UNUSED_PAD src0_sel:BYTE_0 src1_sel:DWORD
	v_mul_u32_u24_e32 v44, 0xba2f, v73
	v_sub_u16_sdwa v1, v160, v0 dst_sel:DWORD dst_unused:UNUSED_PAD src0_sel:DWORD src1_sel:BYTE_1
	v_lshrrev_b32_e32 v2, 19, v44
	v_lshrrev_b16_e32 v1, 1, v1
	s_mov_b32 s0, 0xba2f
	v_mul_lo_u16_e32 v3, 11, v2
	v_and_b32_e32 v1, 0x7f, v1
	v_sub_u16_e32 v3, v73, v3
	v_mul_u32_u24_sdwa v6, v4, s0 dst_sel:DWORD dst_unused:UNUSED_PAD src0_sel:WORD_0 src1_sel:DWORD
	v_lshlrev_b32_e32 v5, 4, v3
	v_lshrrev_b32_e32 v6, 19, v6
	v_add_u16_sdwa v0, v1, v0 dst_sel:DWORD dst_unused:UNUSED_PAD src0_sel:DWORD src1_sel:BYTE_1
	s_load_dwordx4 s[8:11], s[2:3], 0x0
	s_waitcnt lgkmcnt(0)
	s_barrier
	global_load_dwordx4 v[244:247], v5, s[14:15]
	v_mul_lo_u16_e32 v5, 11, v6
	v_lshrrev_b16_e32 v0, 3, v0
	v_add_u16_e32 v72, 0xa5, v160
	v_sub_u16_e32 v4, v4, v5
	v_mul_lo_u16_e32 v1, 11, v0
	v_mul_u32_u24_e32 v20, 0xba2f, v72
	v_lshlrev_b32_e32 v5, 4, v4
	v_sub_u16_e32 v1, v160, v1
	v_lshrrev_b32_e32 v7, 19, v20
	global_load_dwordx4 v[14:17], v5, s[14:15]
	v_and_b32_e32 v1, 0xff, v1
	v_mul_lo_u16_e32 v8, 11, v7
	v_lshlrev_b32_e32 v5, 4, v1
	v_sub_u16_e32 v8, v72, v8
	global_load_dwordx4 v[10:13], v5, s[14:15]
	v_lshlrev_b32_e32 v5, 4, v8
	global_load_dwordx4 v[250:253], v5, s[14:15]
	v_mov_b32_e32 v5, 4
	v_lshlrev_b32_sdwa v159, v5, v160 dst_sel:DWORD dst_unused:UNUSED_PAD src0_sel:DWORD src1_sel:WORD_0
	ds_read_b128 v[22:25], v159
	ds_read_b128 v[32:35], v159 offset:2640
	ds_read_b128 v[36:39], v159 offset:10560
	;; [unrolled: 1-line block ×7, first 2 shown]
	v_mul_u32_u24_e32 v0, 22, v0
	v_mad_legacy_u16 v5, v7, 22, v8
	v_mad_legacy_u16 v2, v2, 22, v3
	v_add_lshl_u32 v255, v0, v1, 4
	v_mad_legacy_u16 v0, v6, 22, v4
	v_lshlrev_b32_e32 v254, 4, v5
	v_lshlrev_b32_e32 v21, 4, v2
	s_waitcnt lgkmcnt(0)
	s_barrier
	s_movk_i32 s0, 0x6e
	v_cmp_gt_u16_e64 s[2:3], s0, v160
	s_waitcnt vmcnt(3)
	v_mul_f64 v[26:27], v[56:57], v[246:247]
	v_mul_f64 v[62:63], v[54:55], v[246:247]
	v_fma_f64 v[26:27], v[54:55], v[244:245], -v[26:27]
	v_fmac_f64_e32 v[62:63], v[56:57], v[244:245]
	v_add_f64 v[56:57], v[48:49], -v[62:63]
	v_fma_f64 v[48:49], v[48:49], 2.0, -v[56:57]
	s_waitcnt vmcnt(2)
	v_mul_f64 v[54:55], v[60:61], v[16:17]
	v_mul_f64 v[64:65], v[58:59], v[16:17]
	v_fma_f64 v[58:59], v[58:59], v[14:15], -v[54:55]
	v_fmac_f64_e32 v[64:65], v[60:61], v[14:15]
	v_add_f64 v[54:55], v[46:47], -v[26:27]
	v_add_f64 v[60:61], v[50:51], -v[58:59]
	;; [unrolled: 1-line block ×3, first 2 shown]
	s_waitcnt vmcnt(1)
	v_mul_f64 v[26:27], v[38:39], v[12:13]
	v_fma_f64 v[84:85], v[50:51], 2.0, -v[60:61]
	v_fma_f64 v[86:87], v[52:53], 2.0, -v[62:63]
	v_mul_f64 v[50:51], v[36:37], v[12:13]
	s_waitcnt vmcnt(0)
	v_mul_f64 v[52:53], v[42:43], v[252:253]
	v_mul_f64 v[58:59], v[40:41], v[252:253]
	v_fma_f64 v[26:27], v[36:37], v[10:11], -v[26:27]
	v_fmac_f64_e32 v[50:51], v[38:39], v[10:11]
	v_fma_f64 v[40:41], v[40:41], v[250:251], -v[52:53]
	v_fmac_f64_e32 v[58:59], v[42:43], v[250:251]
	v_add_f64 v[36:37], v[22:23], -v[26:27]
	v_add_f64 v[38:39], v[24:25], -v[50:51]
	;; [unrolled: 1-line block ×4, first 2 shown]
	v_fma_f64 v[22:23], v[22:23], 2.0, -v[36:37]
	v_fma_f64 v[46:47], v[46:47], 2.0, -v[54:55]
	;; [unrolled: 1-line block ×5, first 2 shown]
	ds_write_b128 v255, v[36:39] offset:176
	ds_write_b128 v255, v[22:25]
	ds_write_b128 v254, v[32:35]
	ds_write_b128 v254, v[40:43] offset:176
	ds_write_b128 v21, v[46:49]
	ds_write_b128 v21, v[54:57] offset:176
	v_lshlrev_b32_e32 v22, 4, v0
	ds_write_b128 v22, v[84:87]
	ds_write_b128 v22, v[60:63] offset:176
	s_waitcnt lgkmcnt(0)
	s_barrier
	ds_read_b128 v[32:35], v159
	ds_read_b128 v[80:83], v159 offset:2640
	ds_read_b128 v[36:39], v159 offset:7040
	;; [unrolled: 1-line block ×5, first 2 shown]
	s_and_saveexec_b64 s[0:1], s[2:3]
	s_cbranch_execz .LBB0_9
; %bb.8:
	ds_read_b128 v[84:87], v159 offset:5280
	ds_read_b128 v[60:63], v159 offset:12320
	;; [unrolled: 1-line block ×3, first 2 shown]
.LBB0_9:
	s_or_b64 exec, exec, s[0:1]
	v_lshrrev_b32_e32 v161, 20, v44
	v_mul_lo_u16_e32 v2, 22, v161
	v_sub_u16_e32 v239, v73, v2
	v_lshrrev_b16_e32 v2, 1, v160
	v_lshrrev_b32_e32 v0, 20, v20
	v_and_b32_e32 v2, 0x7f, v2
	v_mul_lo_u16_e32 v1, 22, v0
	v_mul_lo_u16_e32 v2, 0xbb, v2
	v_sub_u16_e32 v1, v72, v1
	v_lshrrev_b16_e32 v2, 11, v2
	v_lshlrev_b16_e32 v46, 5, v1
	v_mov_b32_e32 v47, 0
	v_mul_lo_u16_e32 v3, 22, v2
	v_lshl_add_u64 v[48:49], s[14:15], 0, v[46:47]
	v_lshlrev_b16_e32 v46, 5, v239
	v_sub_u16_e32 v3, v160, v3
	global_load_dwordx4 v[24:27], v[48:49], off offset:176
	global_load_dwordx4 v[6:9], v[48:49], off offset:192
	v_lshl_add_u64 v[52:53], s[14:15], 0, v[46:47]
	v_and_b32_e32 v3, 0xff, v3
	global_load_dwordx4 v[48:51], v[52:53], off offset:176
	global_load_dwordx4 v[44:47], v[52:53], off offset:192
	v_lshlrev_b32_e32 v4, 5, v3
	global_load_dwordx4 v[56:59], v4, s[14:15] offset:176
	global_load_dwordx4 v[52:55], v4, s[14:15] offset:192
	s_mov_b32 s0, 0xe8584caa
	s_mov_b32 s1, 0x3febb67a
	;; [unrolled: 1-line block ×4, first 2 shown]
	v_mul_u32_u24_e32 v2, 0x42, v2
	v_add_lshl_u32 v2, v2, v3, 4
	v_accvgpr_write_b32 a46, v2
	s_waitcnt lgkmcnt(0)
	s_barrier
	s_waitcnt vmcnt(5)
	v_mul_f64 v[74:75], v[66:67], v[26:27]
	v_mul_f64 v[88:89], v[64:65], v[26:27]
	s_waitcnt vmcnt(4)
	v_mul_f64 v[90:91], v[70:71], v[8:9]
	v_mul_f64 v[92:93], v[68:69], v[8:9]
	v_fma_f64 v[64:65], v[64:65], v[24:25], -v[74:75]
	v_fmac_f64_e32 v[88:89], v[66:67], v[24:25]
	v_fma_f64 v[66:67], v[68:69], v[6:7], -v[90:91]
	v_fmac_f64_e32 v[92:93], v[70:71], v[6:7]
	s_waitcnt vmcnt(3)
	v_mul_f64 v[68:69], v[62:63], v[50:51]
	v_mul_f64 v[70:71], v[60:61], v[50:51]
	s_waitcnt vmcnt(2)
	v_mul_f64 v[74:75], v[30:31], v[46:47]
	v_mul_f64 v[90:91], v[28:29], v[46:47]
	v_fma_f64 v[60:61], v[60:61], v[48:49], -v[68:69]
	v_fmac_f64_e32 v[70:71], v[62:63], v[48:49]
	v_fma_f64 v[62:63], v[28:29], v[44:45], -v[74:75]
	v_fmac_f64_e32 v[90:91], v[30:31], v[44:45]
	v_add_f64 v[28:29], v[80:81], v[64:65]
	v_add_f64 v[30:31], v[64:65], v[66:67]
	;; [unrolled: 1-line block ×3, first 2 shown]
	s_waitcnt vmcnt(1)
	v_mul_f64 v[94:95], v[38:39], v[58:59]
	v_mul_f64 v[96:97], v[36:37], v[58:59]
	s_waitcnt vmcnt(0)
	v_mul_f64 v[98:99], v[42:43], v[54:55]
	v_mul_f64 v[100:101], v[40:41], v[54:55]
	v_add_f64 v[68:69], v[88:89], -v[92:93]
	v_add_f64 v[88:89], v[88:89], v[92:93]
	v_add_f64 v[64:65], v[64:65], -v[66:67]
	v_add_f64 v[28:29], v[28:29], v[66:67]
	v_fmac_f64_e32 v[80:81], -0.5, v[30:31]
	v_add_f64 v[30:31], v[74:75], v[92:93]
	v_add_f64 v[66:67], v[84:85], v[60:61]
	;; [unrolled: 1-line block ×3, first 2 shown]
	v_add_f64 v[104:105], v[60:61], -v[62:63]
	v_fma_f64 v[60:61], v[36:37], v[56:57], -v[94:95]
	v_fmac_f64_e32 v[96:97], v[38:39], v[56:57]
	v_fma_f64 v[40:41], v[40:41], v[52:53], -v[98:99]
	v_fmac_f64_e32 v[100:101], v[42:43], v[52:53]
	v_fmac_f64_e32 v[82:83], -0.5, v[88:89]
	v_add_f64 v[88:89], v[70:71], -v[90:91]
	v_add_f64 v[102:103], v[86:87], v[70:71]
	v_add_f64 v[70:71], v[70:71], v[90:91]
	v_fma_f64 v[36:37], s[0:1], v[68:69], v[80:81]
	v_fmac_f64_e32 v[80:81], s[4:5], v[68:69]
	v_add_f64 v[92:93], v[66:67], v[62:63]
	v_add_f64 v[62:63], v[60:61], v[40:41]
	;; [unrolled: 1-line block ×3, first 2 shown]
	v_fma_f64 v[38:39], s[4:5], v[64:65], v[82:83]
	v_fmac_f64_e32 v[82:83], s[0:1], v[64:65]
	v_fmac_f64_e32 v[84:85], -0.5, v[74:75]
	v_fmac_f64_e32 v[86:87], -0.5, v[70:71]
	v_add_f64 v[42:43], v[32:33], v[60:61]
	v_add_f64 v[64:65], v[96:97], -v[100:101]
	v_add_f64 v[66:67], v[34:35], v[96:97]
	v_add_f64 v[70:71], v[60:61], -v[40:41]
	v_fmac_f64_e32 v[32:33], -0.5, v[62:63]
	v_fmac_f64_e32 v[34:35], -0.5, v[68:69]
	v_fma_f64 v[96:97], s[0:1], v[88:89], v[84:85]
	v_fmac_f64_e32 v[84:85], s[4:5], v[88:89]
	v_fma_f64 v[60:61], s[0:1], v[64:65], v[32:33]
	v_fmac_f64_e32 v[32:33], s[4:5], v[64:65]
	v_fma_f64 v[62:63], s[4:5], v[70:71], v[34:35]
	v_fma_f64 v[98:99], s[4:5], v[104:105], v[86:87]
	s_movk_i32 s4, 0x42
	v_mad_legacy_u16 v0, v0, s4, v1
	v_accvgpr_write_b32 a29, v9
	v_lshlrev_b32_e32 v0, 4, v0
	v_accvgpr_write_b32 a28, v8
	v_accvgpr_write_b32 a27, v7
	;; [unrolled: 1-line block ×3, first 2 shown]
	v_add_f64 v[94:95], v[102:103], v[90:91]
	v_add_f64 v[40:41], v[42:43], v[40:41]
	;; [unrolled: 1-line block ×3, first 2 shown]
	v_fmac_f64_e32 v[34:35], s[0:1], v[70:71]
	v_fmac_f64_e32 v[86:87], s[0:1], v[104:105]
	v_accvgpr_write_b32 a47, v0
	ds_write_b128 v2, v[40:43]
	ds_write_b128 v2, v[60:63] offset:352
	ds_write_b128 v2, v[32:35] offset:704
	ds_write_b128 v0, v[28:31]
	ds_write_b128 v0, v[36:39] offset:352
	ds_write_b128 v0, v[80:83] offset:704
	s_and_saveexec_b64 s[0:1], s[2:3]
	s_cbranch_execz .LBB0_11
; %bb.10:
	v_mul_u32_u24_e32 v0, 0xba2f, v73
	v_lshrrev_b32_e32 v0, 20, v0
	v_mad_legacy_u16 v0, v0, s4, v239
	v_lshlrev_b32_e32 v0, 4, v0
	ds_write_b128 v0, v[92:95]
	ds_write_b128 v0, v[96:99] offset:352
	ds_write_b128 v0, v[84:87] offset:704
.LBB0_11:
	s_or_b64 exec, exec, s[0:1]
	s_waitcnt lgkmcnt(0)
	s_barrier
	ds_read_b128 v[88:91], v159
	ds_read_b128 v[112:115], v159 offset:4224
	ds_read_b128 v[108:111], v159 offset:8448
	;; [unrolled: 1-line block ×4, first 2 shown]
	s_movk_i32 s0, 0x63
	v_cmp_gt_u16_e64 s[4:5], s0, v160
	s_and_saveexec_b64 s[0:1], s[4:5]
	s_cbranch_execz .LBB0_13
; %bb.12:
	ds_read_b128 v[80:83], v159 offset:2640
	ds_read_b128 v[92:95], v159 offset:6864
	;; [unrolled: 1-line block ×5, first 2 shown]
.LBB0_13:
	s_or_b64 exec, exec, s[0:1]
	s_movk_i32 s0, 0xf9
	v_mul_u32_u24_e32 v1, 0xf83f, v72
	v_mul_lo_u16_sdwa v0, v160, s0 dst_sel:DWORD dst_unused:UNUSED_PAD src0_sel:BYTE_0 src1_sel:DWORD
	v_lshrrev_b32_e32 v248, 22, v1
	v_mul_lo_u16_e32 v1, 0x42, v248
	v_lshrrev_b16_e32 v0, 14, v0
	v_sub_u16_e32 v249, v72, v1
	v_mul_lo_u16_e32 v1, 0x42, v0
	v_sub_u16_e32 v1, v160, v1
	v_lshlrev_b16_e32 v28, 6, v249
	v_mov_b32_e32 v29, 0
	v_and_b32_e32 v1, 0xff, v1
	v_lshl_add_u64 v[60:61], s[14:15], 0, v[28:29]
	v_lshlrev_b32_e32 v2, 6, v1
	global_load_dwordx4 v[32:35], v[60:61], off offset:896
	global_load_dwordx4 v[28:31], v[60:61], off offset:880
	;; [unrolled: 1-line block ×4, first 2 shown]
	global_load_dwordx4 v[72:75], v2, s[14:15] offset:880
	global_load_dwordx4 v[68:71], v2, s[14:15] offset:896
	;; [unrolled: 1-line block ×3, first 2 shown]
	s_nop 0
	global_load_dwordx4 v[60:63], v2, s[14:15] offset:928
	s_mov_b32 s0, 0x134454ff
	s_mov_b32 s1, 0x3fee6f0e
	;; [unrolled: 1-line block ×10, first 2 shown]
	v_mul_u32_u24_e32 v0, 0x14a, v0
	v_add_lshl_u32 v158, v0, v1, 4
	s_waitcnt lgkmcnt(0)
	s_barrier
	s_waitcnt vmcnt(3)
	v_mul_f64 v[132:133], v[114:115], v[74:75]
	v_mul_f64 v[122:123], v[76:77], v[6:7]
	;; [unrolled: 1-line block ×8, first 2 shown]
	s_waitcnt vmcnt(2)
	v_mul_f64 v[134:135], v[110:111], v[70:71]
	s_waitcnt vmcnt(1)
	v_mul_f64 v[136:137], v[106:107], v[66:67]
	;; [unrolled: 2-line block ×3, first 2 shown]
	v_fmac_f64_e32 v[122:123], v[78:79], v[4:5]
	v_fma_f64 v[78:79], v[112:113], v[72:73], -v[132:133]
	v_mul_f64 v[124:125], v[94:95], v[30:31]
	v_mul_f64 v[128:129], v[86:87], v[38:39]
	;; [unrolled: 1-line block ×4, first 2 shown]
	v_fmac_f64_e32 v[116:117], v[94:95], v[28:29]
	v_fma_f64 v[94:95], v[96:97], v[32:33], -v[126:127]
	v_fmac_f64_e32 v[118:119], v[98:99], v[32:33]
	v_fmac_f64_e32 v[120:121], v[86:87], v[36:37]
	;; [unrolled: 1-line block ×3, first 2 shown]
	v_fma_f64 v[86:87], v[108:109], v[68:69], -v[134:135]
	v_fma_f64 v[96:97], v[104:105], v[64:65], -v[136:137]
	;; [unrolled: 1-line block ×3, first 2 shown]
	v_add_f64 v[100:101], v[88:89], v[78:79]
	v_mul_f64 v[152:153], v[104:105], v[66:67]
	v_fmac_f64_e32 v[150:151], v[110:111], v[68:69]
	v_fmac_f64_e32 v[154:155], v[102:103], v[60:61]
	v_add_f64 v[102:103], v[86:87], v[96:97]
	v_add_f64 v[108:109], v[78:79], -v[86:87]
	v_add_f64 v[110:111], v[98:99], -v[96:97]
	v_add_f64 v[126:127], v[90:91], v[148:149]
	v_add_f64 v[100:101], v[100:101], v[86:87]
	v_fmac_f64_e32 v[152:153], v[106:107], v[64:65]
	v_fma_f64 v[132:133], -0.5, v[102:103], v[88:89]
	v_add_f64 v[102:103], v[108:109], v[110:111]
	v_add_f64 v[110:111], v[126:127], v[150:151]
	;; [unrolled: 1-line block ×7, first 2 shown]
	v_add_f64 v[104:105], v[148:149], -v[154:155]
	v_add_f64 v[112:113], v[78:79], v[98:99]
	v_add_f64 v[114:115], v[86:87], -v[78:79]
	v_fma_f64 v[134:135], -0.5, v[100:101], v[90:91]
	v_add_f64 v[78:79], v[78:79], -v[98:99]
	v_fma_f64 v[92:93], v[92:93], v[28:29], -v[124:125]
	v_add_f64 v[106:107], v[150:151], -v[152:153]
	v_add_f64 v[124:125], v[96:97], -v[98:99]
	v_fmac_f64_e32 v[88:89], -0.5, v[112:113]
	v_fma_f64 v[136:137], s[0:1], v[104:105], v[132:133]
	v_fmac_f64_e32 v[132:133], s[22:23], v[104:105]
	v_fma_f64 v[138:139], s[22:23], v[78:79], v[134:135]
	v_add_f64 v[86:87], v[86:87], -v[96:97]
	v_add_f64 v[96:97], v[148:149], -v[150:151]
	;; [unrolled: 1-line block ×3, first 2 shown]
	v_fmac_f64_e32 v[134:135], s[0:1], v[78:79]
	v_fma_f64 v[84:85], v[84:85], v[36:37], -v[128:129]
	v_fma_f64 v[76:77], v[76:77], v[4:5], -v[130:131]
	v_fma_f64 v[140:141], s[22:23], v[106:107], v[88:89]
	v_fmac_f64_e32 v[88:89], s[0:1], v[106:107]
	v_fmac_f64_e32 v[136:137], s[18:19], v[106:107]
	;; [unrolled: 1-line block ×4, first 2 shown]
	v_add_f64 v[96:97], v[96:97], v[98:99]
	v_fmac_f64_e32 v[134:135], s[18:19], v[86:87]
	v_fmac_f64_e32 v[140:141], s[18:19], v[104:105]
	;; [unrolled: 1-line block ×7, first 2 shown]
	v_add_f64 v[96:97], v[148:149], v[154:155]
	v_add_f64 v[102:103], v[94:95], -v[92:93]
	v_add_f64 v[104:105], v[84:85], -v[76:77]
	v_fmac_f64_e32 v[90:91], -0.5, v[96:97]
	v_add_f64 v[112:113], v[102:103], v[104:105]
	v_add_f64 v[102:103], v[118:119], v[120:121]
	;; [unrolled: 1-line block ×3, first 2 shown]
	v_fma_f64 v[142:143], s[0:1], v[86:87], v[90:91]
	v_add_f64 v[96:97], v[150:151], -v[148:149]
	v_add_f64 v[98:99], v[152:153], -v[154:155]
	v_fmac_f64_e32 v[90:91], s[22:23], v[86:87]
	v_add_f64 v[86:87], v[92:93], -v[94:95]
	v_add_f64 v[100:101], v[76:77], -v[84:85]
	v_fma_f64 v[110:111], -0.5, v[102:103], v[82:83]
	v_add_f64 v[102:103], v[116:117], -v[118:119]
	v_add_f64 v[106:107], v[122:123], -v[120:121]
	v_fmac_f64_e32 v[140:141], s[20:21], v[108:109]
	v_fmac_f64_e32 v[88:89], s[20:21], v[108:109]
	;; [unrolled: 1-line block ×3, first 2 shown]
	v_add_f64 v[96:97], v[96:97], v[98:99]
	v_fmac_f64_e32 v[90:91], s[18:19], v[78:79]
	v_add_f64 v[78:79], v[94:95], v[84:85]
	v_add_f64 v[108:109], v[86:87], v[100:101]
	;; [unrolled: 1-line block ×5, first 2 shown]
	v_fmac_f64_e32 v[142:143], s[20:21], v[96:97]
	v_fmac_f64_e32 v[90:91], s[20:21], v[96:97]
	v_fma_f64 v[78:79], -0.5, v[78:79], v[80:81]
	v_add_f64 v[96:97], v[116:117], -v[122:123]
	v_add_f64 v[98:99], v[118:119], -v[120:121]
	v_fma_f64 v[86:87], -0.5, v[86:87], v[80:81]
	v_add_f64 v[114:115], v[92:93], -v[76:77]
	v_add_f64 v[124:125], v[94:95], -v[84:85]
	;; [unrolled: 3-line block ×3, first 2 shown]
	v_fma_f64 v[100:101], s[22:23], v[96:97], v[78:79]
	v_fma_f64 v[104:105], s[0:1], v[98:99], v[86:87]
	;; [unrolled: 1-line block ×3, first 2 shown]
	v_add_f64 v[130:131], v[106:107], v[130:131]
	v_fma_f64 v[106:107], s[22:23], v[124:125], v[128:129]
	v_accvgpr_write_b32 a37, v31
	v_accvgpr_write_b32 a41, v35
	;; [unrolled: 1-line block ×4, first 2 shown]
	v_fmac_f64_e32 v[100:101], s[24:25], v[98:99]
	v_fmac_f64_e32 v[104:105], s[24:25], v[96:97]
	v_fmac_f64_e32 v[102:103], s[18:19], v[124:125]
	v_fmac_f64_e32 v[106:107], s[18:19], v[114:115]
	v_accvgpr_write_b32 a36, v30
	v_accvgpr_write_b32 a35, v29
	;; [unrolled: 1-line block ×12, first 2 shown]
	v_fmac_f64_e32 v[100:101], s[20:21], v[108:109]
	v_fmac_f64_e32 v[104:105], s[20:21], v[112:113]
	v_fmac_f64_e32 v[102:103], s[20:21], v[126:127]
	v_fmac_f64_e32 v[106:107], s[20:21], v[130:131]
	s_movk_i32 s24, 0x14a
	ds_write_b128 v158, v[144:147]
	ds_write_b128 v158, v[136:139] offset:1056
	ds_write_b128 v158, v[140:143] offset:2112
	;; [unrolled: 1-line block ×4, first 2 shown]
	s_and_saveexec_b64 s[22:23], s[4:5]
	s_cbranch_execz .LBB0_15
; %bb.14:
	v_mul_f64 v[90:91], v[96:97], s[0:1]
	v_mul_f64 v[132:133], v[98:99], s[18:19]
	;; [unrolled: 1-line block ×3, first 2 shown]
	v_add_f64 v[78:79], v[78:79], v[90:91]
	v_mul_f64 v[108:109], v[108:109], s[20:21]
	v_mul_f64 v[96:97], v[96:97], s[18:19]
	v_add_f64 v[86:87], v[86:87], -v[134:135]
	v_add_f64 v[78:79], v[132:133], v[78:79]
	v_add_f64 v[82:83], v[82:83], v[116:117]
	;; [unrolled: 1-line block ×5, first 2 shown]
	v_mul_f64 v[98:99], v[114:115], s[0:1]
	v_mul_f64 v[88:89], v[124:125], s[0:1]
	v_add_f64 v[82:83], v[82:83], v[118:119]
	v_add_f64 v[78:79], v[78:79], v[94:95]
	v_mul_f64 v[136:137], v[124:125], s[18:19]
	v_mul_f64 v[114:115], v[114:115], s[18:19]
	v_add_f64 v[88:89], v[88:89], v[128:129]
	v_add_f64 v[98:99], v[110:111], -v[98:99]
	v_add_f64 v[82:83], v[82:83], v[120:121]
	v_add_f64 v[78:79], v[78:79], v[84:85]
	v_mad_legacy_u16 v0, v248, s24, v249
	v_mul_f64 v[112:113], v[112:113], s[20:21]
	v_mul_f64 v[126:127], v[126:127], s[20:21]
	;; [unrolled: 1-line block ×3, first 2 shown]
	v_add_f64 v[88:89], v[88:89], -v[114:115]
	v_add_f64 v[98:99], v[98:99], -v[136:137]
	v_add_f64 v[82:83], v[82:83], v[122:123]
	v_add_f64 v[80:81], v[78:79], v[76:77]
	v_lshlrev_b32_e32 v0, 4, v0
	v_add_f64 v[88:89], v[124:125], v[88:89]
	v_add_f64 v[98:99], v[126:127], v[98:99]
	;; [unrolled: 1-line block ×3, first 2 shown]
	ds_write_b128 v0, v[80:83]
	ds_write_b128 v0, v[96:99] offset:1056
	ds_write_b128 v0, v[86:89] offset:2112
	;; [unrolled: 1-line block ×4, first 2 shown]
.LBB0_15:
	s_or_b64 exec, exec, s[22:23]
	v_mad_u64_u32 v[92:93], s[0:1], v160, 48, s[14:15]
	s_mov_b64 s[0:1], 0x13f0
	s_nop 0
	v_lshl_add_u64 v[88:89], v[92:93], 0, s[0:1]
	s_movk_i32 s0, 0x1000
	v_add_co_u32_e32 v90, vcc, s0, v92
	s_movk_i32 s14, 0x3000
	s_nop 0
	v_addc_co_u32_e32 v91, vcc, 0, v93, vcc
	s_waitcnt lgkmcnt(0)
	s_barrier
	global_load_dwordx4 v[80:83], v[90:91], off offset:1008
	global_load_dwordx4 v[76:79], v[88:89], off offset:32
	;; [unrolled: 1-line block ×3, first 2 shown]
	s_mov_b64 s[0:1], 0x32e0
	v_add_co_u32_e32 v88, vcc, s14, v92
	v_lshl_add_u64 v[108:109], v[92:93], 0, s[0:1]
	s_nop 0
	v_addc_co_u32_e32 v89, vcc, 0, v93, vcc
	global_load_dwordx4 v[88:91], v[88:89], off offset:736
	s_nop 0
	global_load_dwordx4 v[96:99], v[108:109], off offset:16
	global_load_dwordx4 v[92:95], v[108:109], off offset:32
	ds_read_b128 v[108:111], v159
	ds_read_b128 v[112:115], v159 offset:2640
	ds_read_b128 v[116:119], v159 offset:5280
	ds_read_b128 v[120:123], v159 offset:7920
	ds_read_b128 v[124:127], v159 offset:10560
	ds_read_b128 v[128:131], v159 offset:13200
	ds_read_b128 v[132:135], v159 offset:15840
	ds_read_b128 v[136:139], v159 offset:18480
	s_waitcnt vmcnt(5) lgkmcnt(5)
	v_mul_f64 v[140:141], v[118:119], v[82:83]
	v_mul_f64 v[142:143], v[116:117], v[82:83]
	s_waitcnt vmcnt(3) lgkmcnt(3)
	v_mul_f64 v[144:145], v[126:127], v[86:87]
	v_mul_f64 v[146:147], v[124:125], v[86:87]
	s_waitcnt lgkmcnt(1)
	v_mul_f64 v[148:149], v[134:135], v[78:79]
	v_mul_f64 v[150:151], v[132:133], v[78:79]
	v_fma_f64 v[116:117], v[116:117], v[80:81], -v[140:141]
	v_fmac_f64_e32 v[142:143], v[118:119], v[80:81]
	v_fma_f64 v[118:119], v[124:125], v[84:85], -v[144:145]
	s_waitcnt vmcnt(2)
	v_mul_f64 v[152:153], v[122:123], v[90:91]
	v_mul_f64 v[154:155], v[120:121], v[90:91]
	s_waitcnt vmcnt(1)
	v_mul_f64 v[162:163], v[130:131], v[98:99]
	s_waitcnt vmcnt(0) lgkmcnt(0)
	v_mul_f64 v[166:167], v[138:139], v[94:95]
	v_mul_f64 v[164:165], v[128:129], v[98:99]
	;; [unrolled: 1-line block ×3, first 2 shown]
	v_fmac_f64_e32 v[146:147], v[126:127], v[84:85]
	v_fma_f64 v[124:125], v[132:133], v[76:77], -v[148:149]
	v_fmac_f64_e32 v[150:151], v[134:135], v[76:77]
	v_fma_f64 v[120:121], v[120:121], v[88:89], -v[152:153]
	;; [unrolled: 2-line block ×3, first 2 shown]
	v_fma_f64 v[126:127], v[136:137], v[92:93], -v[166:167]
	v_fmac_f64_e32 v[164:165], v[130:131], v[96:97]
	v_fmac_f64_e32 v[168:169], v[138:139], v[92:93]
	v_add_f64 v[128:129], v[108:109], -v[118:119]
	v_add_f64 v[130:131], v[110:111], -v[146:147]
	;; [unrolled: 1-line block ×8, first 2 shown]
	v_fma_f64 v[108:109], v[108:109], 2.0, -v[128:129]
	v_fma_f64 v[110:111], v[110:111], 2.0, -v[130:131]
	;; [unrolled: 1-line block ×6, first 2 shown]
	v_add_f64 v[116:117], v[128:129], -v[124:125]
	v_fma_f64 v[146:147], v[114:115], 2.0, -v[138:139]
	v_fma_f64 v[114:115], v[154:155], 2.0, -v[122:123]
	v_add_f64 v[124:125], v[108:109], -v[126:127]
	v_add_f64 v[126:127], v[110:111], -v[132:133]
	;; [unrolled: 1-line block ×3, first 2 shown]
	v_add_f64 v[118:119], v[130:131], v[118:119]
	v_add_f64 v[140:141], v[136:137], -v[122:123]
	v_fma_f64 v[120:121], v[128:129], 2.0, -v[116:117]
	v_add_f64 v[134:135], v[146:147], -v[114:115]
	v_fma_f64 v[128:129], v[142:143], 2.0, -v[132:133]
	v_add_f64 v[142:143], v[138:139], v[144:145]
	v_fma_f64 v[122:123], v[130:131], 2.0, -v[118:119]
	v_fma_f64 v[112:113], v[108:109], 2.0, -v[124:125]
	;; [unrolled: 1-line block ×6, first 2 shown]
	ds_write_b128 v159, v[112:115]
	ds_write_b128 v159, v[120:123] offset:5280
	ds_write_b128 v159, v[124:127] offset:10560
	;; [unrolled: 1-line block ×7, first 2 shown]
	s_waitcnt lgkmcnt(0)
	s_barrier
	s_and_saveexec_b64 s[0:1], s[6:7]
	s_cbranch_execz .LBB0_17
; %bb.16:
	v_mov_b32_e32 v0, v157
	v_mov_b32_e32 v157, 0
	v_lshl_add_u64 v[162:163], s[16:17], 0, v[156:157]
	v_add_co_u32_e32 v108, vcc, 0x5000, v162
	s_mov_b64 s[14:15], 0x5280
	s_nop 0
	v_addc_co_u32_e32 v109, vcc, 0, v163, vcc
	global_load_dwordx4 v[108:111], v[108:109], off offset:640
	v_lshl_add_u64 v[148:149], v[162:163], 0, s[14:15]
	s_movk_i32 s14, 0x6000
	v_add_co_u32_e32 v152, vcc, s14, v162
	s_movk_i32 s14, 0x7000
	s_nop 0
	v_addc_co_u32_e32 v153, vcc, 0, v163, vcc
	v_add_co_u32_e32 v172, vcc, s14, v162
	s_mov_b32 s14, 0x8000
	s_nop 0
	v_addc_co_u32_e32 v173, vcc, 0, v163, vcc
	v_add_co_u32_e32 v180, vcc, s14, v162
	global_load_dwordx4 v[144:147], v[148:149], off offset:1920
	s_nop 0
	global_load_dwordx4 v[148:151], v[148:149], off offset:3840
	v_addc_co_u32_e32 v181, vcc, 0, v163, vcc
	global_load_dwordx4 v[152:155], v[152:153], off offset:2304
	s_nop 0
	global_load_dwordx4 v[164:167], v[172:173], off offset:128
	global_load_dwordx4 v[168:171], v[172:173], off offset:2048
	s_nop 0
	global_load_dwordx4 v[172:175], v[172:173], off offset:3968
	s_nop 0
	global_load_dwordx4 v[176:179], v[180:181], off offset:1792
	s_nop 0
	global_load_dwordx4 v[180:183], v[180:181], off offset:3712
	s_mov_b32 s14, 0x9000
	v_add_co_u32_e32 v162, vcc, s14, v162
	v_mov_b32_e32 v157, v0
	s_nop 0
	v_addc_co_u32_e32 v163, vcc, 0, v163, vcc
	global_load_dwordx4 v[184:187], v[162:163], off offset:1536
	global_load_dwordx4 v[188:191], v[162:163], off offset:3456
	ds_read_b128 v[192:195], v159
	s_waitcnt vmcnt(10) lgkmcnt(0)
	v_mul_f64 v[162:163], v[194:195], v[110:111]
	v_mul_f64 v[198:199], v[192:193], v[110:111]
	v_fma_f64 v[196:197], v[192:193], v[108:109], -v[162:163]
	v_fmac_f64_e32 v[198:199], v[194:195], v[108:109]
	ds_write_b128 v159, v[196:199]
	ds_read_b128 v[108:111], v156 offset:1920
	ds_read_b128 v[192:195], v156 offset:3840
	;; [unrolled: 1-line block ×8, first 2 shown]
	s_waitcnt vmcnt(9) lgkmcnt(7)
	v_mul_f64 v[162:163], v[110:111], v[146:147]
	v_mul_f64 v[222:223], v[108:109], v[146:147]
	s_waitcnt vmcnt(8) lgkmcnt(6)
	v_mul_f64 v[224:225], v[194:195], v[150:151]
	v_mul_f64 v[146:147], v[192:193], v[150:151]
	;; [unrolled: 3-line block ×6, first 2 shown]
	v_fma_f64 v[220:221], v[108:109], v[144:145], -v[162:163]
	v_fmac_f64_e32 v[222:223], v[110:111], v[144:145]
	s_waitcnt vmcnt(3) lgkmcnt(1)
	v_mul_f64 v[234:235], v[214:215], v[178:179]
	v_mul_f64 v[174:175], v[212:213], v[178:179]
	s_waitcnt vmcnt(2) lgkmcnt(0)
	v_mul_f64 v[236:237], v[218:219], v[182:183]
	v_mul_f64 v[178:179], v[216:217], v[182:183]
	v_fma_f64 v[144:145], v[192:193], v[148:149], -v[224:225]
	v_fmac_f64_e32 v[146:147], v[194:195], v[148:149]
	v_fma_f64 v[148:149], v[196:197], v[152:153], -v[226:227]
	v_fmac_f64_e32 v[150:151], v[198:199], v[152:153]
	v_fma_f64 v[152:153], v[200:201], v[164:165], -v[228:229]
	v_fmac_f64_e32 v[154:155], v[202:203], v[164:165]
	v_fma_f64 v[164:165], v[204:205], v[168:169], -v[230:231]
	v_fmac_f64_e32 v[166:167], v[206:207], v[168:169]
	v_fma_f64 v[168:169], v[208:209], v[172:173], -v[232:233]
	v_fmac_f64_e32 v[170:171], v[210:211], v[172:173]
	ds_write_b128 v156, v[220:223] offset:1920
	ds_write_b128 v156, v[144:147] offset:3840
	;; [unrolled: 1-line block ×5, first 2 shown]
	v_fma_f64 v[172:173], v[212:213], v[176:177], -v[234:235]
	v_fmac_f64_e32 v[174:175], v[214:215], v[176:177]
	v_fma_f64 v[176:177], v[216:217], v[180:181], -v[236:237]
	v_fmac_f64_e32 v[178:179], v[218:219], v[180:181]
	ds_read_b128 v[108:111], v156 offset:17280
	ds_write_b128 v156, v[168:171] offset:11520
	ds_write_b128 v156, v[172:175] offset:13440
	;; [unrolled: 1-line block ×3, first 2 shown]
	ds_read_b128 v[144:147], v156 offset:19200
	s_waitcnt vmcnt(1) lgkmcnt(4)
	v_mul_f64 v[148:149], v[110:111], v[186:187]
	v_mul_f64 v[150:151], v[108:109], v[186:187]
	v_fma_f64 v[148:149], v[108:109], v[184:185], -v[148:149]
	v_fmac_f64_e32 v[150:151], v[110:111], v[184:185]
	s_waitcnt vmcnt(0) lgkmcnt(0)
	v_mul_f64 v[108:109], v[146:147], v[190:191]
	v_mul_f64 v[110:111], v[144:145], v[190:191]
	v_fma_f64 v[108:109], v[144:145], v[188:189], -v[108:109]
	v_fmac_f64_e32 v[110:111], v[146:147], v[188:189]
	ds_write_b128 v156, v[148:151] offset:17280
	ds_write_b128 v156, v[108:111] offset:19200
.LBB0_17:
	s_or_b64 exec, exec, s[0:1]
	s_waitcnt lgkmcnt(0)
	s_barrier
	s_and_saveexec_b64 s[0:1], s[6:7]
	s_cbranch_execz .LBB0_19
; %bb.18:
	ds_read_b128 v[112:115], v159
	ds_read_b128 v[120:123], v159 offset:1920
	ds_read_b128 v[124:127], v159 offset:3840
	;; [unrolled: 1-line block ×10, first 2 shown]
.LBB0_19:
	s_or_b64 exec, exec, s[0:1]
	s_mov_b32 s18, 0x8eee2c13
	s_waitcnt lgkmcnt(0)
	v_add_f64 v[162:163], v[122:123], -v[242:243]
	s_mov_b32 s0, 0xd9c712b6
	s_mov_b32 s19, 0xbfed1bb4
	v_add_f64 v[152:153], v[240:241], v[120:121]
	v_add_f64 v[154:155], v[242:243], v[122:123]
	s_mov_b32 s1, 0x3fda9628
	v_mul_f64 v[174:175], v[162:163], s[18:19]
	s_mov_b32 s24, 0x43842ef
	v_add_f64 v[170:171], v[126:127], -v[102:103]
	s_mov_b32 s22, 0x7f775887
	v_add_f64 v[166:167], v[120:121], -v[240:241]
	v_mul_f64 v[178:179], v[154:155], s[0:1]
	v_fma_f64 v[108:109], v[152:153], s[0:1], -v[174:175]
	s_mov_b32 s14, 0x640f44db
	s_mov_b32 s25, 0xbfefac9e
	v_add_f64 v[164:165], v[100:101], v[124:125]
	v_add_f64 v[168:169], v[102:103], v[126:127]
	s_mov_b32 s23, 0xbfe4f49e
	v_mul_f64 v[188:189], v[170:171], s[28:29]
	v_add_f64 v[108:109], v[112:113], v[108:109]
	v_fma_f64 v[110:111], s[18:19], v[166:167], v[178:179]
	s_mov_b32 s15, 0xbfc2375f
	v_mul_f64 v[190:191], v[162:163], s[24:25]
	v_add_f64 v[176:177], v[124:125], -v[100:101]
	v_mul_f64 v[194:195], v[168:169], s[22:23]
	v_fma_f64 v[148:149], v[164:165], s[22:23], -v[188:189]
	s_mov_b32 s26, 0x9bcd5057
	s_mov_b32 s31, 0x3fd207e7
	;; [unrolled: 1-line block ×3, first 2 shown]
	v_add_f64 v[110:111], v[114:115], v[110:111]
	v_mul_f64 v[200:201], v[154:155], s[14:15]
	v_fma_f64 v[144:145], v[152:153], s[14:15], -v[190:191]
	v_add_f64 v[108:109], v[148:149], v[108:109]
	v_fma_f64 v[148:149], s[28:29], v[176:177], v[194:195]
	s_mov_b32 s27, 0xbfeeb42a
	v_mul_f64 v[208:209], v[170:171], s[30:31]
	v_add_f64 v[144:145], v[112:113], v[144:145]
	v_fma_f64 v[146:147], s[24:25], v[166:167], v[200:201]
	v_add_f64 v[110:111], v[148:149], v[110:111]
	v_mul_f64 v[216:217], v[168:169], s[26:27]
	v_fma_f64 v[148:149], v[164:165], s[26:27], -v[208:209]
	v_add_f64 v[184:185], v[118:119], -v[106:107]
	v_add_f64 v[146:147], v[114:115], v[146:147]
	v_add_f64 v[144:145], v[148:149], v[144:145]
	v_fma_f64 v[148:149], s[30:31], v[176:177], v[216:217]
	v_add_f64 v[172:173], v[116:117], v[104:105]
	v_add_f64 v[180:181], v[118:119], v[106:107]
	v_mul_f64 v[202:203], v[184:185], s[30:31]
	v_add_f64 v[146:147], v[148:149], v[146:147]
	v_add_f64 v[192:193], v[116:117], -v[104:105]
	v_mul_f64 v[210:211], v[180:181], s[26:27]
	v_fma_f64 v[148:149], v[172:173], s[26:27], -v[202:203]
	s_mov_b32 s38, s18
	v_add_f64 v[108:109], v[148:149], v[108:109]
	v_fma_f64 v[148:149], s[30:31], v[192:193], v[210:211]
	v_mul_f64 v[218:219], v[184:185], s[38:39]
	v_add_f64 v[110:111], v[148:149], v[110:111]
	v_mul_f64 v[224:225], v[180:181], s[0:1]
	v_fma_f64 v[148:149], v[172:173], s[0:1], -v[218:219]
	v_add_f64 v[198:199], v[130:131], -v[142:143]
	s_mov_b32 s41, 0x3fefac9e
	s_mov_b32 s40, s24
	v_add_f64 v[144:145], v[148:149], v[144:145]
	v_fma_f64 v[148:149], s[38:39], v[192:193], v[224:225]
	v_add_f64 v[182:183], v[128:129], v[140:141]
	v_add_f64 v[186:187], v[130:131], v[142:143]
	v_mul_f64 v[214:215], v[198:199], s[40:41]
	s_mov_b32 s36, 0xf8bb580b
	v_add_f64 v[146:147], v[148:149], v[146:147]
	v_add_f64 v[206:207], v[128:129], -v[140:141]
	v_mul_f64 v[220:221], v[186:187], s[14:15]
	v_fma_f64 v[148:149], v[182:183], s[14:15], -v[214:215]
	s_mov_b32 s34, 0x8764f0ba
	s_mov_b32 s37, 0xbfe14ced
	v_add_f64 v[108:109], v[148:149], v[108:109]
	v_fma_f64 v[148:149], s[40:41], v[206:207], v[220:221]
	s_mov_b32 s35, 0x3feaeb8c
	v_mul_f64 v[228:229], v[198:199], s[36:37]
	v_add_f64 v[110:111], v[148:149], v[110:111]
	v_mul_f64 v[232:233], v[186:187], s[34:35]
	v_fma_f64 v[148:149], v[182:183], s[34:35], -v[228:229]
	v_add_f64 v[212:213], v[138:139], -v[134:135]
	s_mov_b32 s43, 0x3fe14ced
	s_mov_b32 s42, s36
	v_add_f64 v[144:145], v[148:149], v[144:145]
	v_fma_f64 v[148:149], s[36:37], v[206:207], v[232:233]
	v_add_f64 v[196:197], v[132:133], v[136:137]
	v_add_f64 v[204:205], v[134:135], v[138:139]
	v_mul_f64 v[226:227], v[212:213], s[42:43]
	v_add_f64 v[146:147], v[148:149], v[146:147]
	v_add_f64 v[222:223], v[136:137], -v[132:133]
	v_mul_f64 v[230:231], v[204:205], s[34:35]
	v_fma_f64 v[148:149], v[196:197], s[34:35], -v[226:227]
	v_add_f64 v[108:109], v[148:149], v[108:109]
	v_fma_f64 v[148:149], s[42:43], v[222:223], v[230:231]
	v_mul_f64 v[234:235], v[212:213], s[28:29]
	v_add_f64 v[110:111], v[148:149], v[110:111]
	v_mul_f64 v[236:237], v[204:205], s[22:23]
	v_fma_f64 v[148:149], v[196:197], s[22:23], -v[234:235]
	v_add_f64 v[144:145], v[148:149], v[144:145]
	v_fma_f64 v[148:149], s[28:29], v[222:223], v[236:237]
	v_add_f64 v[146:147], v[148:149], v[146:147]
	s_barrier
	s_and_saveexec_b64 s[20:21], s[6:7]
	s_cbranch_execz .LBB0_21
; %bb.20:
	v_mul_f64 v[0:1], v[152:153], s[0:1]
	v_accvgpr_write_b32 a49, v1
	v_accvgpr_write_b32 a48, v0
	v_mul_f64 v[0:1], v[166:167], s[18:19]
	v_accvgpr_write_b32 a55, v1
	v_accvgpr_write_b32 a54, v0
	;; [unrolled: 3-line block ×5, first 2 shown]
	v_mul_f64 v[0:1], v[172:173], s[26:27]
	v_accvgpr_write_b32 a53, v1
	v_mul_f64 v[30:31], v[176:177], s[30:31]
	v_accvgpr_write_b32 a52, v0
	v_mul_f64 v[0:1], v[192:193], s[30:31]
	s_mov_b32 s31, 0xbfd207e7
	v_accvgpr_write_b32 a14, v250
	v_mul_f64 v[4:5], v[166:167], s[30:31]
	v_accvgpr_write_b32 a21, v13
	v_accvgpr_write_b32 a22, v21
	;; [unrolled: 1-line block ×3, first 2 shown]
	v_mov_b64_e32 v[20:21], v[240:241]
	v_accvgpr_write_b32 a15, v251
	v_accvgpr_write_b32 a16, v252
	v_accvgpr_write_b32 a17, v253
	v_mul_f64 v[250:251], v[176:177], s[42:43]
	v_accvgpr_write_b32 a23, v254
	v_accvgpr_write_b32 a24, v255
	v_fma_f64 v[254:255], s[26:27], v[154:155], v[4:5]
	v_accvgpr_write_b32 a20, v12
	v_accvgpr_write_b32 a19, v11
	v_accvgpr_write_b32 a18, v10
	v_mul_f64 v[12:13], v[162:163], s[30:31]
	v_accvgpr_write_b32 a4, v14
	v_mov_b64_e32 v[22:23], v[242:243]
	v_mul_f64 v[242:243], v[192:193], s[28:29]
	v_accvgpr_write_b32 a8, v244
	v_fma_f64 v[252:253], s[34:35], v[168:169], v[250:251]
	v_add_f64 v[254:255], v[114:115], v[254:255]
	v_mul_f64 v[8:9], v[170:171], s[42:43]
	v_accvgpr_write_b32 a5, v15
	v_accvgpr_write_b32 a6, v16
	;; [unrolled: 1-line block ×3, first 2 shown]
	v_fma_f64 v[14:15], v[152:153], s[26:27], -v[12:13]
	v_mul_f64 v[240:241], v[206:207], s[38:39]
	v_accvgpr_write_b32 a9, v245
	v_accvgpr_write_b32 a10, v246
	;; [unrolled: 1-line block ×3, first 2 shown]
	v_fma_f64 v[244:245], s[22:23], v[180:181], v[242:243]
	v_add_f64 v[252:253], v[252:253], v[254:255]
	v_mul_f64 v[246:247], v[184:185], s[28:29]
	v_fma_f64 v[10:11], v[164:165], s[34:35], -v[8:9]
	v_add_f64 v[14:15], v[112:113], v[14:15]
	v_accvgpr_write_b32 a2, v238
	v_accvgpr_write_b32 a3, v239
	v_mul_f64 v[238:239], v[222:223], s[24:25]
	v_fma_f64 v[150:151], s[0:1], v[186:187], v[240:241]
	v_add_f64 v[244:245], v[244:245], v[252:253]
	v_mul_f64 v[254:255], v[198:199], s[38:39]
	v_accvgpr_write_b32 a12, v248
	v_accvgpr_write_b32 a13, v249
	v_fma_f64 v[248:249], v[172:173], s[22:23], -v[246:247]
	v_add_f64 v[10:11], v[10:11], v[14:15]
	v_fma_f64 v[148:149], s[14:15], v[204:205], v[238:239]
	v_add_f64 v[150:151], v[150:151], v[244:245]
	v_mul_f64 v[244:245], v[212:213], s[24:25]
	v_fma_f64 v[252:253], v[182:183], s[0:1], -v[254:255]
	v_add_f64 v[10:11], v[248:249], v[10:11]
	v_fma_f64 v[4:5], v[154:155], s[26:27], -v[4:5]
	v_add_f64 v[150:151], v[148:149], v[150:151]
	;; [unrolled: 2-line block ×3, first 2 shown]
	v_fma_f64 v[14:15], v[186:187], s[0:1], -v[240:241]
	v_fma_f64 v[240:241], v[168:169], s[34:35], -v[250:251]
	v_add_f64 v[4:5], v[114:115], v[4:5]
	v_add_f64 v[148:149], v[148:149], v[10:11]
	v_fma_f64 v[10:11], v[204:205], s[14:15], -v[238:239]
	v_fma_f64 v[238:239], v[180:181], s[22:23], -v[242:243]
	v_add_f64 v[4:5], v[240:241], v[4:5]
	v_add_f64 v[4:5], v[238:239], v[4:5]
	v_accvgpr_write_b32 a63, v1
	v_add_f64 v[4:5], v[14:15], v[4:5]
	v_fmac_f64_e32 v[12:13], s[26:27], v[152:153]
	v_accvgpr_write_b32 a62, v0
	v_mul_f64 v[0:1], v[182:183], s[14:15]
	v_add_f64 v[252:253], v[10:11], v[4:5]
	v_fmac_f64_e32 v[8:9], s[34:35], v[164:165]
	v_add_f64 v[4:5], v[112:113], v[12:13]
	v_accvgpr_write_b32 a57, v1
	v_fmac_f64_e32 v[246:247], s[22:23], v[172:173]
	v_add_f64 v[4:5], v[8:9], v[4:5]
	v_accvgpr_write_b32 a56, v0
	v_mul_f64 v[0:1], v[206:207], s[40:41]
	v_fmac_f64_e32 v[254:255], s[0:1], v[182:183]
	v_add_f64 v[4:5], v[246:247], v[4:5]
	v_accvgpr_write_b32 a67, v1
	v_fmac_f64_e32 v[244:245], s[14:15], v[196:197]
	v_add_f64 v[4:5], v[254:255], v[4:5]
	v_accvgpr_write_b32 a66, v0
	v_mul_f64 v[0:1], v[196:197], s[34:35]
	v_add_f64 v[250:251], v[244:245], v[4:5]
	v_mul_f64 v[244:245], v[166:167], s[28:29]
	v_accvgpr_write_b32 a61, v1
	v_mul_f64 v[242:243], v[176:177], s[40:41]
	v_fma_f64 v[246:247], s[22:23], v[154:155], v[244:245]
	v_accvgpr_write_b32 a60, v0
	v_mul_f64 v[14:15], v[192:193], s[36:37]
	v_fma_f64 v[240:241], s[14:15], v[168:169], v[242:243]
	v_add_f64 v[246:247], v[114:115], v[246:247]
	v_mul_f64 v[0:1], v[162:163], s[28:29]
	v_mul_f64 v[10:11], v[206:207], s[30:31]
	v_fma_f64 v[238:239], s[34:35], v[180:181], v[14:15]
	v_add_f64 v[240:241], v[240:241], v[246:247]
	v_mul_f64 v[16:17], v[170:171], s[40:41]
	v_accvgpr_write_b32 a0, v160
	v_accvgpr_write_b32 a1, v161
	v_fma_f64 v[160:161], v[152:153], s[22:23], -v[0:1]
	v_mul_f64 v[4:5], v[222:223], s[38:39]
	v_fma_f64 v[12:13], s[26:27], v[186:187], v[10:11]
	v_add_f64 v[238:239], v[238:239], v[240:241]
	v_mul_f64 v[248:249], v[184:185], s[36:37]
	v_fma_f64 v[18:19], v[164:165], s[14:15], -v[16:17]
	v_add_f64 v[160:161], v[112:113], v[160:161]
	v_fmac_f64_e32 v[0:1], s[22:23], v[152:153]
	v_fma_f64 v[8:9], s[0:1], v[204:205], v[4:5]
	v_add_f64 v[12:13], v[12:13], v[238:239]
	v_mul_f64 v[246:247], v[198:199], s[30:31]
	v_fma_f64 v[254:255], v[172:173], s[34:35], -v[248:249]
	v_add_f64 v[18:19], v[18:19], v[160:161]
	v_fmac_f64_e32 v[16:17], s[14:15], v[164:165]
	v_add_f64 v[0:1], v[112:113], v[0:1]
	v_add_f64 v[240:241], v[8:9], v[12:13]
	v_mul_f64 v[8:9], v[212:213], s[38:39]
	v_fma_f64 v[238:239], v[182:183], s[26:27], -v[246:247]
	v_add_f64 v[18:19], v[254:255], v[18:19]
	v_fmac_f64_e32 v[248:249], s[34:35], v[172:173]
	v_add_f64 v[0:1], v[16:17], v[0:1]
	v_fma_f64 v[12:13], v[196:197], s[0:1], -v[8:9]
	v_add_f64 v[18:19], v[238:239], v[18:19]
	v_fmac_f64_e32 v[246:247], s[26:27], v[182:183]
	v_add_f64 v[0:1], v[248:249], v[0:1]
	v_mul_f64 v[32:33], v[166:167], s[24:25]
	v_add_f64 v[238:239], v[12:13], v[18:19]
	v_fma_f64 v[18:19], v[154:155], s[22:23], -v[244:245]
	v_fmac_f64_e32 v[8:9], s[0:1], v[196:197]
	v_add_f64 v[0:1], v[246:247], v[0:1]
	v_mul_f64 v[6:7], v[206:207], s[36:37]
	v_mul_f64 v[2:3], v[222:223], s[28:29]
	v_fma_f64 v[12:13], v[180:181], s[34:35], -v[14:15]
	v_fma_f64 v[14:15], v[168:169], s[14:15], -v[242:243]
	v_add_f64 v[18:19], v[114:115], v[18:19]
	v_add_f64 v[242:243], v[8:9], v[0:1]
	v_add_f64 v[8:9], v[200:201], -v[32:33]
	v_add_f64 v[14:15], v[14:15], v[18:19]
	v_add_f64 v[0:1], v[236:237], -v[2:3]
	v_add_f64 v[2:3], v[232:233], -v[6:7]
	;; [unrolled: 1-line block ×3, first 2 shown]
	v_add_f64 v[8:9], v[114:115], v[8:9]
	v_fma_f64 v[10:11], v[186:187], s[26:27], -v[10:11]
	v_add_f64 v[12:13], v[12:13], v[14:15]
	v_add_f64 v[6:7], v[6:7], v[8:9]
	v_accvgpr_read_b32 v8, a64
	v_mul_f64 v[36:37], v[192:193], s[38:39]
	v_fma_f64 v[4:5], v[204:205], s[0:1], -v[4:5]
	v_add_f64 v[10:11], v[10:11], v[12:13]
	v_accvgpr_read_b32 v9, a65
	v_mul_f64 v[40:41], v[164:165], s[26:27]
	v_add_f64 v[244:245], v[4:5], v[10:11]
	v_add_f64 v[4:5], v[224:225], -v[36:37]
	v_add_f64 v[8:9], v[8:9], v[190:191]
	v_mul_f64 v[34:35], v[172:173], s[0:1]
	v_add_f64 v[4:5], v[4:5], v[6:7]
	v_add_f64 v[6:7], v[40:41], v[208:209]
	;; [unrolled: 1-line block ×3, first 2 shown]
	v_mul_f64 v[42:43], v[182:183], s[34:35]
	v_add_f64 v[2:3], v[2:3], v[4:5]
	v_add_f64 v[4:5], v[34:35], v[218:219]
	;; [unrolled: 1-line block ×3, first 2 shown]
	v_accvgpr_read_b32 v8, a54
	v_mul_f64 v[28:29], v[196:197], s[22:23]
	v_add_f64 v[236:237], v[0:1], v[2:3]
	v_add_f64 v[2:3], v[42:43], v[228:229]
	;; [unrolled: 1-line block ×3, first 2 shown]
	v_accvgpr_read_b32 v6, a58
	v_accvgpr_read_b32 v9, a55
	v_add_f64 v[0:1], v[28:29], v[234:235]
	v_add_f64 v[2:3], v[2:3], v[4:5]
	v_accvgpr_read_b32 v4, a62
	v_accvgpr_read_b32 v7, a59
	v_add_f64 v[8:9], v[178:179], -v[8:9]
	v_add_f64 v[234:235], v[0:1], v[2:3]
	v_accvgpr_read_b32 v2, a66
	v_accvgpr_read_b32 v5, a63
	v_add_f64 v[6:7], v[194:195], -v[6:7]
	v_add_f64 v[8:9], v[114:115], v[8:9]
	v_accvgpr_read_b32 v3, a67
	v_add_f64 v[4:5], v[210:211], -v[4:5]
	v_add_f64 v[6:7], v[6:7], v[8:9]
	v_accvgpr_read_b32 v8, a48
	v_mul_f64 v[38:39], v[222:223], s[42:43]
	v_add_f64 v[2:3], v[220:221], -v[2:3]
	v_add_f64 v[4:5], v[4:5], v[6:7]
	v_accvgpr_read_b32 v6, a50
	v_accvgpr_read_b32 v9, a49
	v_add_f64 v[0:1], v[230:231], -v[38:39]
	v_add_f64 v[2:3], v[2:3], v[4:5]
	v_accvgpr_read_b32 v4, a52
	v_accvgpr_read_b32 v7, a51
	v_add_f64 v[8:9], v[8:9], v[174:175]
	v_add_f64 v[190:191], v[0:1], v[2:3]
	v_accvgpr_read_b32 v2, a56
	v_accvgpr_read_b32 v5, a53
	v_add_f64 v[6:7], v[6:7], v[188:189]
	v_add_f64 v[8:9], v[112:113], v[8:9]
	v_mul_f64 v[16:17], v[166:167], s[36:37]
	v_accvgpr_read_b32 v0, a60
	v_accvgpr_read_b32 v3, a57
	v_add_f64 v[4:5], v[4:5], v[202:203]
	v_add_f64 v[6:7], v[6:7], v[8:9]
	v_mul_f64 v[12:13], v[176:177], s[18:19]
	v_fma_f64 v[18:19], s[34:35], v[154:155], v[16:17]
	v_accvgpr_read_b32 v1, a61
	v_add_f64 v[2:3], v[2:3], v[214:215]
	v_add_f64 v[4:5], v[4:5], v[6:7]
	v_mul_f64 v[8:9], v[192:193], s[24:25]
	v_fma_f64 v[14:15], s[0:1], v[168:169], v[12:13]
	v_add_f64 v[18:19], v[114:115], v[18:19]
	v_mul_f64 v[34:35], v[162:163], s[36:37]
	v_add_f64 v[0:1], v[0:1], v[226:227]
	v_add_f64 v[2:3], v[2:3], v[4:5]
	v_mul_f64 v[4:5], v[206:207], s[28:29]
	v_fma_f64 v[10:11], s[14:15], v[180:181], v[8:9]
	v_add_f64 v[14:15], v[14:15], v[18:19]
	v_mul_f64 v[30:31], v[170:171], s[18:19]
	v_fma_f64 v[36:37], v[152:153], s[34:35], -v[34:35]
	v_add_f64 v[188:189], v[0:1], v[2:3]
	v_mul_f64 v[0:1], v[222:223], s[30:31]
	v_fma_f64 v[6:7], s[22:23], v[186:187], v[4:5]
	v_add_f64 v[10:11], v[10:11], v[14:15]
	v_mul_f64 v[18:19], v[184:185], s[24:25]
	v_fma_f64 v[32:33], v[164:165], s[0:1], -v[30:31]
	v_add_f64 v[36:37], v[112:113], v[36:37]
	v_fma_f64 v[2:3], s[26:27], v[204:205], v[0:1]
	v_add_f64 v[6:7], v[6:7], v[10:11]
	v_mul_f64 v[10:11], v[198:199], s[28:29]
	v_fma_f64 v[28:29], v[172:173], s[14:15], -v[18:19]
	v_add_f64 v[32:33], v[32:33], v[36:37]
	v_add_f64 v[176:177], v[2:3], v[6:7]
	v_mul_f64 v[2:3], v[212:213], s[30:31]
	v_fma_f64 v[14:15], v[182:183], s[22:23], -v[10:11]
	v_add_f64 v[28:29], v[28:29], v[32:33]
	v_fma_f64 v[6:7], v[196:197], s[26:27], -v[2:3]
	v_add_f64 v[14:15], v[14:15], v[28:29]
	v_add_f64 v[174:175], v[6:7], v[14:15]
	v_fma_f64 v[6:7], v[180:181], s[14:15], -v[8:9]
	v_fma_f64 v[8:9], v[168:169], s[0:1], -v[12:13]
	;; [unrolled: 1-line block ×3, first 2 shown]
	v_add_f64 v[12:13], v[114:115], v[12:13]
	v_add_f64 v[8:9], v[8:9], v[12:13]
	v_fma_f64 v[4:5], v[186:187], s[22:23], -v[4:5]
	v_add_f64 v[6:7], v[6:7], v[8:9]
	v_fma_f64 v[0:1], v[204:205], s[26:27], -v[0:1]
	v_add_f64 v[4:5], v[4:5], v[6:7]
	v_fmac_f64_e32 v[34:35], s[34:35], v[152:153]
	v_add_f64 v[154:155], v[0:1], v[4:5]
	v_fmac_f64_e32 v[30:31], s[0:1], v[164:165]
	;; [unrolled: 2-line block ×5, first 2 shown]
	v_add_f64 v[0:1], v[10:11], v[0:1]
	v_add_f64 v[152:153], v[2:3], v[0:1]
	;; [unrolled: 1-line block ×22, first 2 shown]
	v_lshlrev_b32_e32 v4, 4, v157
	v_accvgpr_read_b32 v17, a7
	v_accvgpr_read_b32 v10, a18
	ds_write_b128 v4, v[0:3]
	ds_write_b128 v4, v[152:155] offset:16
	ds_write_b128 v4, v[188:191] offset:32
	;; [unrolled: 1-line block ×4, first 2 shown]
	v_accvgpr_read_b32 v247, a11
	ds_write_b128 v4, v[250:253] offset:80
	v_accvgpr_read_b32 v253, a17
	v_accvgpr_read_b32 v161, a1
	;; [unrolled: 1-line block ×21, first 2 shown]
	ds_write_b128 v4, v[148:151] offset:96
	ds_write_b128 v4, v[238:241] offset:112
	v_accvgpr_read_b32 v239, a3
	v_accvgpr_read_b32 v238, a2
	ds_write_b128 v4, v[144:147] offset:128
	ds_write_b128 v4, v[108:111] offset:144
	;; [unrolled: 1-line block ×3, first 2 shown]
.LBB0_21:
	s_or_b64 exec, exec, s[20:21]
	s_waitcnt lgkmcnt(0)
	s_barrier
	ds_read_b128 v[0:3], v159
	ds_read_b128 v[100:103], v159 offset:2640
	ds_read_b128 v[104:107], v159 offset:10560
	;; [unrolled: 1-line block ×7, first 2 shown]
	s_waitcnt lgkmcnt(5)
	v_mul_f64 v[4:5], v[12:13], v[106:107]
	v_mul_f64 v[6:7], v[12:13], v[104:105]
	v_fmac_f64_e32 v[4:5], v[10:11], v[104:105]
	v_fma_f64 v[6:7], v[10:11], v[106:107], -v[6:7]
	s_waitcnt lgkmcnt(4)
	v_mul_f64 v[8:9], v[252:253], v[114:115]
	v_mul_f64 v[10:11], v[252:253], v[112:113]
	s_waitcnt lgkmcnt(1)
	v_mul_f64 v[28:29], v[246:247], v[126:127]
	v_mul_f64 v[12:13], v[246:247], v[124:125]
	v_fmac_f64_e32 v[8:9], v[250:251], v[112:113]
	v_fma_f64 v[10:11], v[250:251], v[114:115], -v[10:11]
	v_fmac_f64_e32 v[28:29], v[244:245], v[124:125]
	v_fma_f64 v[30:31], v[244:245], v[126:127], -v[12:13]
	s_waitcnt lgkmcnt(0)
	v_mul_f64 v[32:33], v[16:17], v[130:131]
	v_mul_f64 v[12:13], v[16:17], v[128:129]
	v_fmac_f64_e32 v[32:33], v[14:15], v[128:129]
	v_fma_f64 v[34:35], v[14:15], v[130:131], -v[12:13]
	v_add_f64 v[12:13], v[0:1], -v[4:5]
	v_add_f64 v[14:15], v[2:3], -v[6:7]
	v_add_f64 v[16:17], v[100:101], -v[8:9]
	v_add_f64 v[18:19], v[102:103], -v[10:11]
	v_add_f64 v[104:105], v[116:117], -v[28:29]
	v_add_f64 v[106:107], v[118:119], -v[30:31]
	v_fma_f64 v[0:1], v[0:1], 2.0, -v[12:13]
	v_fma_f64 v[2:3], v[2:3], 2.0, -v[14:15]
	;; [unrolled: 1-line block ×6, first 2 shown]
	v_add_f64 v[8:9], v[120:121], -v[32:33]
	v_add_f64 v[10:11], v[122:123], -v[34:35]
	v_fma_f64 v[4:5], v[120:121], 2.0, -v[8:9]
	v_fma_f64 v[6:7], v[122:123], 2.0, -v[10:11]
	s_barrier
	ds_write_b128 v255, v[0:3]
	ds_write_b128 v255, v[12:15] offset:176
	ds_write_b128 v254, v[100:103]
	ds_write_b128 v254, v[16:19] offset:176
	;; [unrolled: 2-line block ×4, first 2 shown]
	s_waitcnt lgkmcnt(0)
	s_barrier
	ds_read_b128 v[16:19], v159
	ds_read_b128 v[0:3], v159 offset:2640
	ds_read_b128 v[112:115], v159 offset:7040
	;; [unrolled: 1-line block ×5, first 2 shown]
	s_and_saveexec_b64 s[0:1], s[2:3]
	s_cbranch_execz .LBB0_23
; %bb.22:
	ds_read_b128 v[4:7], v159 offset:5280
	ds_read_b128 v[8:11], v159 offset:12320
	;; [unrolled: 1-line block ×3, first 2 shown]
.LBB0_23:
	s_or_b64 exec, exec, s[0:1]
	v_accvgpr_read_b32 v20, a26
	v_accvgpr_read_b32 v22, a28
	;; [unrolled: 1-line block ×4, first 2 shown]
	s_waitcnt lgkmcnt(0)
	v_mul_f64 v[40:41], v[22:23], v[14:15]
	v_fmac_f64_e32 v[40:41], v[20:21], v[12:13]
	v_mul_f64 v[12:13], v[22:23], v[12:13]
	v_fma_f64 v[12:13], v[20:21], v[14:15], -v[12:13]
	v_mul_f64 v[14:15], v[50:51], v[10:11]
	v_mul_f64 v[28:29], v[58:59], v[114:115]
	v_fmac_f64_e32 v[14:15], v[48:49], v[8:9]
	v_mul_f64 v[8:9], v[50:51], v[8:9]
	v_fmac_f64_e32 v[28:29], v[56:57], v[112:113]
	v_mul_f64 v[32:33], v[54:55], v[106:107]
	v_fma_f64 v[42:43], v[48:49], v[10:11], -v[8:9]
	v_mul_f64 v[8:9], v[46:47], v[144:145]
	v_mul_f64 v[30:31], v[58:59], v[112:113]
	v_fmac_f64_e32 v[32:33], v[52:53], v[104:105]
	v_mul_f64 v[34:35], v[54:55], v[104:105]
	v_fma_f64 v[54:55], v[44:45], v[146:147], -v[8:9]
	v_add_f64 v[8:9], v[16:17], v[28:29]
	v_fma_f64 v[30:31], v[56:57], v[114:115], -v[30:31]
	v_fma_f64 v[34:35], v[52:53], v[106:107], -v[34:35]
	v_add_f64 v[20:21], v[8:9], v[32:33]
	v_add_f64 v[8:9], v[28:29], v[32:33]
	s_mov_b32 s0, 0xe8584caa
	v_mul_f64 v[36:37], v[26:27], v[102:103]
	v_mul_f64 v[26:27], v[26:27], v[100:101]
	v_fmac_f64_e32 v[16:17], -0.5, v[8:9]
	v_add_f64 v[8:9], v[30:31], -v[34:35]
	s_mov_b32 s1, 0xbfebb67a
	s_mov_b32 s15, 0x3febb67a
	;; [unrolled: 1-line block ×3, first 2 shown]
	v_fmac_f64_e32 v[36:37], v[24:25], v[100:101]
	v_fma_f64 v[38:39], v[24:25], v[102:103], -v[26:27]
	v_fma_f64 v[24:25], s[0:1], v[8:9], v[16:17]
	v_fmac_f64_e32 v[16:17], s[14:15], v[8:9]
	v_add_f64 v[8:9], v[18:19], v[30:31]
	v_add_f64 v[22:23], v[8:9], v[34:35]
	;; [unrolled: 1-line block ×3, first 2 shown]
	v_fmac_f64_e32 v[18:19], -0.5, v[8:9]
	v_add_f64 v[8:9], v[28:29], -v[32:33]
	v_mul_f64 v[52:53], v[46:47], v[146:147]
	v_fma_f64 v[26:27], s[14:15], v[8:9], v[18:19]
	v_fmac_f64_e32 v[18:19], s[0:1], v[8:9]
	v_add_f64 v[8:9], v[0:1], v[36:37]
	v_fmac_f64_e32 v[52:53], v[44:45], v[144:145]
	v_add_f64 v[44:45], v[8:9], v[40:41]
	v_add_f64 v[8:9], v[36:37], v[40:41]
	v_fmac_f64_e32 v[0:1], -0.5, v[8:9]
	v_add_f64 v[8:9], v[38:39], -v[12:13]
	v_fma_f64 v[48:49], s[0:1], v[8:9], v[0:1]
	v_fmac_f64_e32 v[0:1], s[14:15], v[8:9]
	v_add_f64 v[8:9], v[2:3], v[38:39]
	v_add_f64 v[46:47], v[8:9], v[12:13]
	v_add_f64 v[8:9], v[38:39], v[12:13]
	v_fmac_f64_e32 v[2:3], -0.5, v[8:9]
	v_add_f64 v[8:9], v[36:37], -v[40:41]
	v_add_f64 v[10:11], v[14:15], v[52:53]
	v_fma_f64 v[50:51], s[14:15], v[8:9], v[2:3]
	v_fmac_f64_e32 v[2:3], s[0:1], v[8:9]
	v_add_f64 v[8:9], v[14:15], v[4:5]
	v_fmac_f64_e32 v[4:5], -0.5, v[10:11]
	v_add_f64 v[10:11], v[42:43], -v[54:55]
	v_add_f64 v[28:29], v[42:43], v[54:55]
	v_fma_f64 v[12:13], s[0:1], v[10:11], v[4:5]
	v_fmac_f64_e32 v[4:5], s[14:15], v[10:11]
	v_add_f64 v[10:11], v[42:43], v[6:7]
	v_fmac_f64_e32 v[6:7], -0.5, v[28:29]
	v_add_f64 v[28:29], v[14:15], -v[52:53]
	v_fma_f64 v[14:15], s[14:15], v[28:29], v[6:7]
	v_fmac_f64_e32 v[6:7], s[0:1], v[28:29]
	v_accvgpr_read_b32 v28, a46
	v_add_f64 v[8:9], v[8:9], v[52:53]
	v_add_f64 v[10:11], v[54:55], v[10:11]
	s_barrier
	ds_write_b128 v28, v[20:23]
	ds_write_b128 v28, v[24:27] offset:352
	ds_write_b128 v28, v[16:19] offset:704
	v_accvgpr_read_b32 v16, a47
	ds_write_b128 v16, v[44:47]
	ds_write_b128 v16, v[48:51] offset:352
	ds_write_b128 v16, v[0:3] offset:704
	s_and_saveexec_b64 s[0:1], s[2:3]
	s_cbranch_execz .LBB0_25
; %bb.24:
	s_movk_i32 s2, 0x42
	v_mad_legacy_u16 v16, v161, s2, v239
	v_lshlrev_b32_e32 v16, 4, v16
	ds_write_b128 v16, v[8:11]
	ds_write_b128 v16, v[12:15] offset:352
	ds_write_b128 v16, v[4:7] offset:704
.LBB0_25:
	s_or_b64 exec, exec, s[0:1]
	s_waitcnt lgkmcnt(0)
	s_barrier
	ds_read_b128 v[16:19], v159
	ds_read_b128 v[48:51], v159 offset:4224
	ds_read_b128 v[44:47], v159 offset:8448
	;; [unrolled: 1-line block ×4, first 2 shown]
	s_and_saveexec_b64 s[0:1], s[4:5]
	s_cbranch_execz .LBB0_27
; %bb.26:
	ds_read_b128 v[0:3], v159 offset:2640
	ds_read_b128 v[8:11], v159 offset:6864
	;; [unrolled: 1-line block ×5, first 2 shown]
.LBB0_27:
	s_or_b64 exec, exec, s[0:1]
	s_waitcnt lgkmcnt(2)
	v_mul_f64 v[32:33], v[70:71], v[46:47]
	s_waitcnt lgkmcnt(1)
	v_mul_f64 v[36:37], v[66:67], v[26:27]
	;; [unrolled: 2-line block ×3, first 2 shown]
	v_mul_f64 v[30:31], v[74:75], v[48:49]
	v_fmac_f64_e32 v[32:33], v[68:69], v[44:45]
	v_fmac_f64_e32 v[36:37], v[64:65], v[24:25]
	;; [unrolled: 1-line block ×3, first 2 shown]
	v_mul_f64 v[20:21], v[62:63], v[20:21]
	v_mul_f64 v[28:29], v[74:75], v[50:51]
	v_fma_f64 v[30:31], v[72:73], v[50:51], -v[30:31]
	v_mul_f64 v[34:35], v[70:71], v[44:45]
	v_mul_f64 v[24:25], v[66:67], v[24:25]
	v_fma_f64 v[42:43], v[60:61], v[22:23], -v[20:21]
	v_add_f64 v[22:23], v[32:33], v[36:37]
	s_mov_b32 s0, 0x134454ff
	v_fmac_f64_e32 v[28:29], v[72:73], v[48:49]
	v_fma_f64 v[34:35], v[68:69], v[46:47], -v[34:35]
	v_fma_f64 v[38:39], v[64:65], v[26:27], -v[24:25]
	v_fma_f64 v[24:25], -0.5, v[22:23], v[16:17]
	v_add_f64 v[22:23], v[30:31], -v[42:43]
	s_mov_b32 s1, 0xbfee6f0e
	s_mov_b32 s2, 0x4755a5e
	;; [unrolled: 1-line block ×4, first 2 shown]
	v_fma_f64 v[44:45], s[0:1], v[22:23], v[24:25]
	v_add_f64 v[26:27], v[34:35], -v[38:39]
	s_mov_b32 s3, 0xbfe2cf23
	v_add_f64 v[46:47], v[28:29], -v[32:33]
	v_add_f64 v[48:49], v[40:41], -v[36:37]
	s_mov_b32 s14, 0x372fe950
	v_fmac_f64_e32 v[24:25], s[18:19], v[22:23]
	s_mov_b32 s21, 0x3fe2cf23
	s_mov_b32 s20, s2
	v_fmac_f64_e32 v[44:45], s[2:3], v[26:27]
	v_add_f64 v[46:47], v[46:47], v[48:49]
	s_mov_b32 s15, 0x3fd3c6ef
	v_fmac_f64_e32 v[24:25], s[20:21], v[26:27]
	v_fmac_f64_e32 v[44:45], s[14:15], v[46:47]
	;; [unrolled: 1-line block ×3, first 2 shown]
	v_add_f64 v[46:47], v[28:29], v[40:41]
	v_add_f64 v[20:21], v[16:17], v[28:29]
	v_fmac_f64_e32 v[16:17], -0.5, v[46:47]
	v_add_f64 v[20:21], v[20:21], v[32:33]
	v_fma_f64 v[48:49], s[18:19], v[26:27], v[16:17]
	v_add_f64 v[46:47], v[32:33], -v[28:29]
	v_add_f64 v[50:51], v[36:37], -v[40:41]
	v_fmac_f64_e32 v[16:17], s[0:1], v[26:27]
	v_add_f64 v[26:27], v[34:35], v[38:39]
	v_add_f64 v[20:21], v[20:21], v[36:37]
	v_fmac_f64_e32 v[48:49], s[2:3], v[22:23]
	v_add_f64 v[46:47], v[46:47], v[50:51]
	v_fmac_f64_e32 v[16:17], s[20:21], v[22:23]
	v_fma_f64 v[26:27], -0.5, v[26:27], v[18:19]
	v_add_f64 v[28:29], v[28:29], -v[40:41]
	v_add_f64 v[20:21], v[20:21], v[40:41]
	v_fmac_f64_e32 v[48:49], s[14:15], v[46:47]
	v_fmac_f64_e32 v[16:17], s[14:15], v[46:47]
	v_fma_f64 v[46:47], s[18:19], v[28:29], v[26:27]
	v_add_f64 v[32:33], v[32:33], -v[36:37]
	v_add_f64 v[36:37], v[30:31], -v[34:35]
	v_add_f64 v[40:41], v[42:43], -v[38:39]
	v_fmac_f64_e32 v[26:27], s[0:1], v[28:29]
	v_fmac_f64_e32 v[46:47], s[20:21], v[32:33]
	v_add_f64 v[36:37], v[36:37], v[40:41]
	v_fmac_f64_e32 v[26:27], s[2:3], v[32:33]
	v_add_f64 v[22:23], v[18:19], v[30:31]
	v_fmac_f64_e32 v[46:47], s[14:15], v[36:37]
	v_fmac_f64_e32 v[26:27], s[14:15], v[36:37]
	v_add_f64 v[36:37], v[30:31], v[42:43]
	v_add_f64 v[22:23], v[22:23], v[34:35]
	v_fmac_f64_e32 v[18:19], -0.5, v[36:37]
	v_add_f64 v[22:23], v[22:23], v[38:39]
	v_fma_f64 v[50:51], s[0:1], v[32:33], v[18:19]
	v_add_f64 v[30:31], v[34:35], -v[30:31]
	v_add_f64 v[34:35], v[38:39], -v[42:43]
	v_fmac_f64_e32 v[18:19], s[18:19], v[32:33]
	v_add_f64 v[22:23], v[22:23], v[42:43]
	v_fmac_f64_e32 v[50:51], s[20:21], v[28:29]
	v_add_f64 v[30:31], v[30:31], v[34:35]
	v_fmac_f64_e32 v[18:19], s[2:3], v[28:29]
	v_fmac_f64_e32 v[50:51], s[14:15], v[30:31]
	v_fmac_f64_e32 v[18:19], s[14:15], v[30:31]
	s_barrier
	ds_write_b128 v158, v[20:23]
	ds_write_b128 v158, v[44:47] offset:1056
	ds_write_b128 v158, v[48:51] offset:2112
	;; [unrolled: 1-line block ×4, first 2 shown]
	s_and_saveexec_b64 s[22:23], s[4:5]
	s_cbranch_execz .LBB0_29
; %bb.28:
	v_accvgpr_read_b32 v30, a38
	v_accvgpr_read_b32 v47, a45
	v_accvgpr_read_b32 v32, a40
	v_accvgpr_read_b32 v33, a41
	v_accvgpr_read_b32 v43, a37
	v_accvgpr_read_b32 v46, a44
	v_accvgpr_read_b32 v39, a33
	v_accvgpr_read_b32 v31, a39
	v_mul_f64 v[16:17], v[32:33], v[12:13]
	v_accvgpr_read_b32 v42, a36
	v_accvgpr_read_b32 v45, a43
	;; [unrolled: 1-line block ×3, first 2 shown]
	v_mul_f64 v[20:21], v[46:47], v[4:5]
	v_accvgpr_read_b32 v38, a32
	v_fma_f64 v[18:19], v[30:31], v[14:15], -v[16:17]
	v_accvgpr_read_b32 v41, a35
	v_accvgpr_read_b32 v40, a34
	v_mul_f64 v[16:17], v[42:43], v[8:9]
	v_fma_f64 v[24:25], v[44:45], v[6:7], -v[20:21]
	v_accvgpr_read_b32 v37, a31
	v_accvgpr_read_b32 v36, a30
	v_mul_f64 v[20:21], v[38:39], v[108:109]
	v_mul_f64 v[28:29], v[32:33], v[14:15]
	v_fma_f64 v[22:23], v[40:41], v[10:11], -v[16:17]
	v_fma_f64 v[26:27], v[36:37], v[110:111], -v[20:21]
	v_fmac_f64_e32 v[28:29], v[30:31], v[12:13]
	v_mul_f64 v[30:31], v[46:47], v[6:7]
	v_mul_f64 v[32:33], v[42:43], v[10:11]
	v_fmac_f64_e32 v[30:31], v[44:45], v[4:5]
	v_add_f64 v[4:5], v[26:27], v[22:23]
	v_fmac_f64_e32 v[32:33], v[40:41], v[8:9]
	v_mul_f64 v[34:35], v[38:39], v[110:111]
	v_add_f64 v[8:9], v[22:23], -v[18:19]
	v_add_f64 v[14:15], v[26:27], -v[24:25]
	;; [unrolled: 1-line block ×3, first 2 shown]
	v_fma_f64 v[4:5], -0.5, v[4:5], v[2:3]
	v_fmac_f64_e32 v[34:35], v[36:37], v[108:109]
	v_add_f64 v[14:15], v[14:15], v[8:9]
	v_add_f64 v[8:9], v[18:19], v[24:25]
	v_add_f64 v[16:17], v[18:19], -v[22:23]
	v_add_f64 v[20:21], v[24:25], -v[26:27]
	v_fma_f64 v[12:13], s[18:19], v[6:7], v[4:5]
	v_add_f64 v[10:11], v[32:33], -v[34:35]
	v_fmac_f64_e32 v[4:5], s[0:1], v[6:7]
	v_fma_f64 v[8:9], -0.5, v[8:9], v[2:3]
	v_add_f64 v[2:3], v[22:23], v[2:3]
	v_add_f64 v[16:17], v[20:21], v[16:17]
	v_fmac_f64_e32 v[12:13], s[2:3], v[10:11]
	v_fmac_f64_e32 v[4:5], s[20:21], v[10:11]
	v_add_f64 v[2:3], v[18:19], v[2:3]
	v_fmac_f64_e32 v[12:13], s[14:15], v[16:17]
	v_fmac_f64_e32 v[4:5], s[14:15], v[16:17]
	v_fma_f64 v[16:17], s[0:1], v[10:11], v[8:9]
	v_fmac_f64_e32 v[8:9], s[18:19], v[10:11]
	v_add_f64 v[2:3], v[24:25], v[2:3]
	v_fmac_f64_e32 v[16:17], s[2:3], v[6:7]
	v_fmac_f64_e32 v[8:9], s[20:21], v[6:7]
	v_add_f64 v[20:21], v[26:27], v[2:3]
	v_add_f64 v[2:3], v[28:29], -v[32:33]
	v_add_f64 v[6:7], v[30:31], -v[34:35]
	v_add_f64 v[6:7], v[6:7], v[2:3]
	v_add_f64 v[2:3], v[34:35], v[32:33]
	v_fma_f64 v[2:3], -0.5, v[2:3], v[0:1]
	v_add_f64 v[18:19], v[18:19], -v[24:25]
	v_add_f64 v[22:23], v[22:23], -v[26:27]
	v_fma_f64 v[10:11], s[0:1], v[18:19], v[2:3]
	v_fmac_f64_e32 v[2:3], s[18:19], v[18:19]
	v_fmac_f64_e32 v[10:11], s[20:21], v[22:23]
	;; [unrolled: 1-line block ×7, first 2 shown]
	v_add_f64 v[6:7], v[32:33], -v[28:29]
	v_add_f64 v[14:15], v[34:35], -v[30:31]
	v_add_f64 v[24:25], v[14:15], v[6:7]
	v_add_f64 v[6:7], v[28:29], v[30:31]
	v_fma_f64 v[6:7], -0.5, v[6:7], v[0:1]
	v_add_f64 v[0:1], v[0:1], v[32:33]
	v_add_f64 v[0:1], v[28:29], v[0:1]
	v_fma_f64 v[14:15], s[18:19], v[22:23], v[6:7]
	v_fmac_f64_e32 v[6:7], s[0:1], v[22:23]
	v_add_f64 v[0:1], v[30:31], v[0:1]
	s_movk_i32 s0, 0x14a
	v_fmac_f64_e32 v[14:15], s[20:21], v[18:19]
	v_fmac_f64_e32 v[6:7], s[2:3], v[18:19]
	v_add_f64 v[18:19], v[34:35], v[0:1]
	v_mad_legacy_u16 v0, v248, s0, v249
	v_lshlrev_b32_e32 v0, 4, v0
	v_fmac_f64_e32 v[14:15], s[14:15], v[24:25]
	v_fmac_f64_e32 v[6:7], s[14:15], v[24:25]
	ds_write_b128 v0, v[18:21]
	ds_write_b128 v0, v[6:9] offset:1056
	ds_write_b128 v0, v[2:5] offset:2112
	;; [unrolled: 1-line block ×4, first 2 shown]
.LBB0_29:
	s_or_b64 exec, exec, s[22:23]
	s_waitcnt lgkmcnt(0)
	s_barrier
	ds_read_b128 v[0:3], v159
	ds_read_b128 v[4:7], v159 offset:2640
	ds_read_b128 v[8:11], v159 offset:5280
	;; [unrolled: 1-line block ×7, first 2 shown]
	s_waitcnt lgkmcnt(5)
	v_mul_f64 v[32:33], v[82:83], v[10:11]
	v_fmac_f64_e32 v[32:33], v[80:81], v[8:9]
	v_mul_f64 v[8:9], v[82:83], v[8:9]
	v_fma_f64 v[8:9], v[80:81], v[10:11], -v[8:9]
	s_waitcnt lgkmcnt(3)
	v_mul_f64 v[10:11], v[86:87], v[18:19]
	v_fmac_f64_e32 v[10:11], v[84:85], v[16:17]
	v_mul_f64 v[16:17], v[86:87], v[16:17]
	v_fma_f64 v[16:17], v[84:85], v[18:19], -v[16:17]
	;; [unrolled: 5-line block ×3, first 2 shown]
	v_mul_f64 v[26:27], v[90:91], v[14:15]
	v_fmac_f64_e32 v[26:27], v[88:89], v[12:13]
	v_mul_f64 v[12:13], v[90:91], v[12:13]
	v_fma_f64 v[34:35], v[88:89], v[14:15], -v[12:13]
	v_mul_f64 v[36:37], v[98:99], v[22:23]
	v_mul_f64 v[12:13], v[98:99], v[20:21]
	v_fmac_f64_e32 v[36:37], v[96:97], v[20:21]
	v_fma_f64 v[20:21], v[96:97], v[22:23], -v[12:13]
	s_waitcnt lgkmcnt(0)
	v_mul_f64 v[22:23], v[94:95], v[30:31]
	v_mul_f64 v[12:13], v[94:95], v[28:29]
	v_fmac_f64_e32 v[22:23], v[92:93], v[28:29]
	v_fma_f64 v[28:29], v[92:93], v[30:31], -v[12:13]
	v_add_f64 v[30:31], v[0:1], -v[10:11]
	v_add_f64 v[38:39], v[2:3], -v[16:17]
	;; [unrolled: 1-line block ×4, first 2 shown]
	v_fma_f64 v[10:11], v[0:1], 2.0, -v[30:31]
	v_fma_f64 v[12:13], v[2:3], 2.0, -v[38:39]
	;; [unrolled: 1-line block ×4, first 2 shown]
	v_add_f64 v[0:1], v[10:11], -v[0:1]
	v_add_f64 v[2:3], v[12:13], -v[2:3]
	v_fma_f64 v[8:9], v[10:11], 2.0, -v[0:1]
	v_fma_f64 v[10:11], v[12:13], 2.0, -v[2:3]
	v_add_f64 v[12:13], v[30:31], v[16:17]
	v_add_f64 v[32:33], v[6:7], -v[20:21]
	v_add_f64 v[28:29], v[34:35], -v[28:29]
	v_fma_f64 v[16:17], v[30:31], 2.0, -v[12:13]
	v_add_f64 v[30:31], v[4:5], -v[36:37]
	v_fma_f64 v[24:25], v[6:7], 2.0, -v[32:33]
	;; [unrolled: 2-line block ×3, first 2 shown]
	v_fma_f64 v[20:21], v[4:5], 2.0, -v[30:31]
	v_fma_f64 v[4:5], v[26:27], 2.0, -v[36:37]
	v_add_f64 v[6:7], v[24:25], -v[6:7]
	v_add_f64 v[14:15], v[38:39], -v[14:15]
	;; [unrolled: 1-line block ×3, first 2 shown]
	v_fma_f64 v[22:23], v[24:25], 2.0, -v[6:7]
	v_add_f64 v[24:25], v[30:31], v[28:29]
	v_add_f64 v[26:27], v[32:33], -v[36:37]
	v_fma_f64 v[18:19], v[38:39], 2.0, -v[14:15]
	v_fma_f64 v[20:21], v[20:21], 2.0, -v[4:5]
	;; [unrolled: 1-line block ×4, first 2 shown]
	ds_write_b128 v159, v[8:11]
	ds_write_b128 v159, v[16:19] offset:5280
	ds_write_b128 v159, v[0:3] offset:10560
	ds_write_b128 v159, v[12:15] offset:15840
	ds_write_b128 v159, v[20:23] offset:2640
	ds_write_b128 v159, v[28:31] offset:7920
	ds_write_b128 v159, v[4:7] offset:13200
	ds_write_b128 v159, v[24:27] offset:18480
	s_waitcnt lgkmcnt(0)
	s_barrier
	s_and_b64 exec, exec, s[6:7]
	s_cbranch_execz .LBB0_31
; %bb.30:
	global_load_dwordx4 v[0:3], v156, s[16:17]
	global_load_dwordx4 v[4:7], v156, s[16:17] offset:1920
	global_load_dwordx4 v[8:11], v156, s[16:17] offset:3840
	v_mov_b32_e32 v157, 0
	s_movk_i32 s0, 0x1000
	v_lshl_add_u64 v[44:45], s[16:17], 0, v[156:157]
	v_add_co_u32_e32 v16, vcc, s0, v44
	v_mad_u64_u32 v[60:61], s[2:3], s8, v160, 0
	s_nop 0
	v_addc_co_u32_e32 v17, vcc, 0, v45, vcc
	global_load_dwordx4 v[12:15], v[16:17], off offset:1664
	s_movk_i32 s2, 0x2000
	v_add_co_u32_e32 v40, vcc, s2, v44
	v_mad_u64_u32 v[22:23], s[0:1], s10, v238, 0
	s_nop 0
	v_addc_co_u32_e32 v41, vcc, 0, v45, vcc
	global_load_dwordx4 v[28:31], v[40:41], off offset:1408
	v_mov_b32_e32 v42, v23
	global_load_dwordx4 v[16:19], v[16:17], off offset:3584
	ds_read_b128 v[24:27], v159
	ds_read_b128 v[32:35], v156 offset:1920
	ds_read_b128 v[36:39], v156 offset:3840
	v_mad_u64_u32 v[48:49], s[4:5], s11, v238, v[42:43]
	global_load_dwordx4 v[40:43], v[40:41], off offset:3328
	s_movk_i32 s3, 0x3000
	v_add_co_u32_e32 v62, vcc, s3, v44
	s_movk_i32 s6, 0x4000
	s_nop 0
	v_addc_co_u32_e32 v63, vcc, 0, v45, vcc
	v_mov_b32_e32 v46, v61
	v_add_co_u32_e32 v64, vcc, s6, v44
	v_mad_u64_u32 v[50:51], s[4:5], s9, v160, v[46:47]
	s_nop 0
	v_addc_co_u32_e32 v65, vcc, 0, v45, vcc
	global_load_dwordx4 v[44:47], v[62:63], off offset:1152
	v_mov_b32_e32 v23, v48
	v_mov_b32_e32 v61, v50
	global_load_dwordx4 v[48:51], v[62:63], off offset:3072
	global_load_dwordx4 v[52:55], v[64:65], off offset:896
	;; [unrolled: 1-line block ×3, first 2 shown]
	v_mov_b32_e32 v20, s12
	v_mov_b32_e32 v21, s13
	v_lshl_add_u64 v[20:21], v[22:23], 4, v[20:21]
	s_mov_b32 s0, 0x8d3018d3
	v_mov_b32_e32 v68, 0x780
	v_lshl_add_u64 v[60:61], v[60:61], 4, v[20:21]
	s_mov_b32 s1, 0x3f48d301
	s_mul_i32 s2, s9, 0x780
	v_mad_u64_u32 v[62:63], s[4:5], s8, v68, v[60:61]
	v_add_u32_e32 v63, s2, v63
	v_mad_u64_u32 v[64:65], s[4:5], s8, v68, v[62:63]
	v_add_u32_e32 v65, s2, v65
	s_waitcnt vmcnt(10) lgkmcnt(2)
	v_mul_f64 v[20:21], v[26:27], v[2:3]
	s_waitcnt vmcnt(9) lgkmcnt(1)
	v_mul_f64 v[22:23], v[34:35], v[6:7]
	v_mul_f64 v[2:3], v[24:25], v[2:3]
	;; [unrolled: 1-line block ×3, first 2 shown]
	v_fmac_f64_e32 v[20:21], v[24:25], v[0:1]
	v_fmac_f64_e32 v[22:23], v[32:33], v[4:5]
	s_waitcnt vmcnt(8) lgkmcnt(0)
	v_mul_f64 v[66:67], v[38:39], v[10:11]
	v_mul_f64 v[10:11], v[36:37], v[10:11]
	v_fma_f64 v[2:3], v[0:1], v[26:27], -v[2:3]
	v_fma_f64 v[6:7], v[4:5], v[34:35], -v[6:7]
	v_mul_f64 v[0:1], v[20:21], s[0:1]
	v_mul_f64 v[4:5], v[22:23], s[0:1]
	ds_read_b128 v[20:23], v156 offset:5760
	v_fmac_f64_e32 v[66:67], v[36:37], v[8:9]
	v_fma_f64 v[10:11], v[8:9], v[38:39], -v[10:11]
	v_mul_f64 v[2:3], v[2:3], s[0:1]
	v_mul_f64 v[6:7], v[6:7], s[0:1]
	;; [unrolled: 1-line block ×4, first 2 shown]
	global_store_dwordx4 v[60:61], v[0:3], off
	global_store_dwordx4 v[62:63], v[4:7], off
	;; [unrolled: 1-line block ×3, first 2 shown]
	ds_read_b128 v[0:3], v156 offset:7680
	s_waitcnt vmcnt(10) lgkmcnt(1)
	v_mul_f64 v[4:5], v[22:23], v[14:15]
	v_mul_f64 v[6:7], v[20:21], v[14:15]
	v_fmac_f64_e32 v[4:5], v[20:21], v[12:13]
	v_fma_f64 v[6:7], v[12:13], v[22:23], -v[6:7]
	v_mad_u64_u32 v[8:9], s[4:5], s8, v68, v[64:65]
	v_mul_f64 v[4:5], v[4:5], s[0:1]
	v_mul_f64 v[6:7], v[6:7], s[0:1]
	v_add_u32_e32 v9, s2, v9
	global_store_dwordx4 v[8:9], v[4:7], off
	v_mad_u64_u32 v[12:13], s[4:5], s8, v68, v[8:9]
	s_waitcnt vmcnt(9) lgkmcnt(0)
	v_mul_f64 v[4:5], v[2:3], v[18:19]
	v_fmac_f64_e32 v[4:5], v[0:1], v[16:17]
	v_mul_f64 v[0:1], v[0:1], v[18:19]
	v_fma_f64 v[0:1], v[16:17], v[2:3], -v[0:1]
	v_mul_f64 v[6:7], v[0:1], s[0:1]
	ds_read_b128 v[0:3], v156 offset:9600
	v_mul_f64 v[4:5], v[4:5], s[0:1]
	v_add_u32_e32 v13, s2, v13
	global_store_dwordx4 v[12:13], v[4:7], off
	ds_read_b128 v[4:7], v156 offset:11520
	s_waitcnt lgkmcnt(1)
	v_mul_f64 v[8:9], v[2:3], v[30:31]
	v_fmac_f64_e32 v[8:9], v[0:1], v[28:29]
	v_mul_f64 v[0:1], v[0:1], v[30:31]
	v_fma_f64 v[0:1], v[28:29], v[2:3], -v[0:1]
	v_mul_f64 v[10:11], v[0:1], s[0:1]
	v_mad_u64_u32 v[12:13], s[4:5], s8, v68, v[12:13]
	s_waitcnt vmcnt(9) lgkmcnt(0)
	v_mul_f64 v[0:1], v[6:7], v[42:43]
	v_mul_f64 v[2:3], v[4:5], v[42:43]
	;; [unrolled: 1-line block ×3, first 2 shown]
	v_add_u32_e32 v13, s2, v13
	v_fmac_f64_e32 v[0:1], v[4:5], v[40:41]
	v_fma_f64 v[2:3], v[40:41], v[6:7], -v[2:3]
	ds_read_b128 v[4:7], v156 offset:13440
	global_store_dwordx4 v[12:13], v[8:11], off
	v_mad_u64_u32 v[12:13], s[4:5], s8, v68, v[12:13]
	v_mul_f64 v[0:1], v[0:1], s[0:1]
	v_mul_f64 v[2:3], v[2:3], s[0:1]
	v_add_u32_e32 v13, s2, v13
	global_store_dwordx4 v[12:13], v[0:3], off
	ds_read_b128 v[0:3], v156 offset:15360
	s_waitcnt vmcnt(10) lgkmcnt(1)
	v_mul_f64 v[8:9], v[6:7], v[46:47]
	v_fmac_f64_e32 v[8:9], v[4:5], v[44:45]
	v_mul_f64 v[4:5], v[4:5], v[46:47]
	v_fma_f64 v[4:5], v[44:45], v[6:7], -v[4:5]
	v_mul_f64 v[10:11], v[4:5], s[0:1]
	s_waitcnt vmcnt(9) lgkmcnt(0)
	v_mul_f64 v[4:5], v[2:3], v[50:51]
	v_fmac_f64_e32 v[4:5], v[0:1], v[48:49]
	v_mul_f64 v[0:1], v[0:1], v[50:51]
	v_mad_u64_u32 v[12:13], s[4:5], s8, v68, v[12:13]
	v_fma_f64 v[0:1], v[48:49], v[2:3], -v[0:1]
	v_mul_f64 v[8:9], v[8:9], s[0:1]
	v_add_u32_e32 v13, s2, v13
	v_mul_f64 v[6:7], v[0:1], s[0:1]
	ds_read_b128 v[0:3], v156 offset:17280
	global_store_dwordx4 v[12:13], v[8:11], off
	v_mad_u64_u32 v[12:13], s[4:5], s8, v68, v[12:13]
	v_mul_f64 v[4:5], v[4:5], s[0:1]
	v_add_u32_e32 v13, s2, v13
	global_store_dwordx4 v[12:13], v[4:7], off
	ds_read_b128 v[4:7], v156 offset:19200
	s_waitcnt vmcnt(10) lgkmcnt(1)
	v_mul_f64 v[8:9], v[2:3], v[54:55]
	v_fmac_f64_e32 v[8:9], v[0:1], v[52:53]
	v_mul_f64 v[0:1], v[0:1], v[54:55]
	v_fma_f64 v[0:1], v[52:53], v[2:3], -v[0:1]
	v_mul_f64 v[10:11], v[0:1], s[0:1]
	v_mad_u64_u32 v[12:13], s[4:5], s8, v68, v[12:13]
	s_waitcnt vmcnt(9) lgkmcnt(0)
	v_mul_f64 v[0:1], v[6:7], v[58:59]
	v_mul_f64 v[2:3], v[4:5], v[58:59]
	v_add_u32_e32 v13, s2, v13
	v_fmac_f64_e32 v[0:1], v[4:5], v[56:57]
	v_fma_f64 v[2:3], v[56:57], v[6:7], -v[2:3]
	v_mul_f64 v[8:9], v[8:9], s[0:1]
	v_mul_f64 v[0:1], v[0:1], s[0:1]
	;; [unrolled: 1-line block ×3, first 2 shown]
	v_mad_u64_u32 v[4:5], s[0:1], s8, v68, v[12:13]
	v_add_u32_e32 v5, s2, v5
	global_store_dwordx4 v[12:13], v[8:11], off
	global_store_dwordx4 v[4:5], v[0:3], off
.LBB0_31:
	s_endpgm
	.section	.rodata,"a",@progbits
	.p2align	6, 0x0
	.amdhsa_kernel bluestein_single_back_len1320_dim1_dp_op_CI_CI
		.amdhsa_group_segment_fixed_size 21120
		.amdhsa_private_segment_fixed_size 0
		.amdhsa_kernarg_size 104
		.amdhsa_user_sgpr_count 2
		.amdhsa_user_sgpr_dispatch_ptr 0
		.amdhsa_user_sgpr_queue_ptr 0
		.amdhsa_user_sgpr_kernarg_segment_ptr 1
		.amdhsa_user_sgpr_dispatch_id 0
		.amdhsa_user_sgpr_kernarg_preload_length 0
		.amdhsa_user_sgpr_kernarg_preload_offset 0
		.amdhsa_user_sgpr_private_segment_size 0
		.amdhsa_uses_dynamic_stack 0
		.amdhsa_enable_private_segment 0
		.amdhsa_system_sgpr_workgroup_id_x 1
		.amdhsa_system_sgpr_workgroup_id_y 0
		.amdhsa_system_sgpr_workgroup_id_z 0
		.amdhsa_system_sgpr_workgroup_info 0
		.amdhsa_system_vgpr_workitem_id 0
		.amdhsa_next_free_vgpr 324
		.amdhsa_next_free_sgpr 44
		.amdhsa_accum_offset 256
		.amdhsa_reserve_vcc 1
		.amdhsa_float_round_mode_32 0
		.amdhsa_float_round_mode_16_64 0
		.amdhsa_float_denorm_mode_32 3
		.amdhsa_float_denorm_mode_16_64 3
		.amdhsa_dx10_clamp 1
		.amdhsa_ieee_mode 1
		.amdhsa_fp16_overflow 0
		.amdhsa_tg_split 0
		.amdhsa_exception_fp_ieee_invalid_op 0
		.amdhsa_exception_fp_denorm_src 0
		.amdhsa_exception_fp_ieee_div_zero 0
		.amdhsa_exception_fp_ieee_overflow 0
		.amdhsa_exception_fp_ieee_underflow 0
		.amdhsa_exception_fp_ieee_inexact 0
		.amdhsa_exception_int_div_zero 0
	.end_amdhsa_kernel
	.text
.Lfunc_end0:
	.size	bluestein_single_back_len1320_dim1_dp_op_CI_CI, .Lfunc_end0-bluestein_single_back_len1320_dim1_dp_op_CI_CI
                                        ; -- End function
	.section	.AMDGPU.csdata,"",@progbits
; Kernel info:
; codeLenInByte = 16596
; NumSgprs: 50
; NumVgprs: 256
; NumAgprs: 68
; TotalNumVgprs: 324
; ScratchSize: 0
; MemoryBound: 0
; FloatMode: 240
; IeeeMode: 1
; LDSByteSize: 21120 bytes/workgroup (compile time only)
; SGPRBlocks: 6
; VGPRBlocks: 40
; NumSGPRsForWavesPerEU: 50
; NumVGPRsForWavesPerEU: 324
; AccumOffset: 256
; Occupancy: 1
; WaveLimiterHint : 1
; COMPUTE_PGM_RSRC2:SCRATCH_EN: 0
; COMPUTE_PGM_RSRC2:USER_SGPR: 2
; COMPUTE_PGM_RSRC2:TRAP_HANDLER: 0
; COMPUTE_PGM_RSRC2:TGID_X_EN: 1
; COMPUTE_PGM_RSRC2:TGID_Y_EN: 0
; COMPUTE_PGM_RSRC2:TGID_Z_EN: 0
; COMPUTE_PGM_RSRC2:TIDIG_COMP_CNT: 0
; COMPUTE_PGM_RSRC3_GFX90A:ACCUM_OFFSET: 63
; COMPUTE_PGM_RSRC3_GFX90A:TG_SPLIT: 0
	.text
	.p2alignl 6, 3212836864
	.fill 256, 4, 3212836864
	.type	__hip_cuid_5aa32d27d664fda4,@object ; @__hip_cuid_5aa32d27d664fda4
	.section	.bss,"aw",@nobits
	.globl	__hip_cuid_5aa32d27d664fda4
__hip_cuid_5aa32d27d664fda4:
	.byte	0                               ; 0x0
	.size	__hip_cuid_5aa32d27d664fda4, 1

	.ident	"AMD clang version 19.0.0git (https://github.com/RadeonOpenCompute/llvm-project roc-6.4.0 25133 c7fe45cf4b819c5991fe208aaa96edf142730f1d)"
	.section	".note.GNU-stack","",@progbits
	.addrsig
	.addrsig_sym __hip_cuid_5aa32d27d664fda4
	.amdgpu_metadata
---
amdhsa.kernels:
  - .agpr_count:     68
    .args:
      - .actual_access:  read_only
        .address_space:  global
        .offset:         0
        .size:           8
        .value_kind:     global_buffer
      - .actual_access:  read_only
        .address_space:  global
        .offset:         8
        .size:           8
        .value_kind:     global_buffer
      - .actual_access:  read_only
        .address_space:  global
        .offset:         16
        .size:           8
        .value_kind:     global_buffer
      - .actual_access:  read_only
        .address_space:  global
        .offset:         24
        .size:           8
        .value_kind:     global_buffer
      - .actual_access:  read_only
        .address_space:  global
        .offset:         32
        .size:           8
        .value_kind:     global_buffer
      - .offset:         40
        .size:           8
        .value_kind:     by_value
      - .address_space:  global
        .offset:         48
        .size:           8
        .value_kind:     global_buffer
      - .address_space:  global
        .offset:         56
        .size:           8
        .value_kind:     global_buffer
      - .address_space:  global
        .offset:         64
        .size:           8
        .value_kind:     global_buffer
      - .address_space:  global
        .offset:         72
        .size:           8
        .value_kind:     global_buffer
      - .offset:         80
        .size:           4
        .value_kind:     by_value
      - .address_space:  global
        .offset:         88
        .size:           8
        .value_kind:     global_buffer
      - .address_space:  global
        .offset:         96
        .size:           8
        .value_kind:     global_buffer
    .group_segment_fixed_size: 21120
    .kernarg_segment_align: 8
    .kernarg_segment_size: 104
    .language:       OpenCL C
    .language_version:
      - 2
      - 0
    .max_flat_workgroup_size: 165
    .name:           bluestein_single_back_len1320_dim1_dp_op_CI_CI
    .private_segment_fixed_size: 0
    .sgpr_count:     50
    .sgpr_spill_count: 0
    .symbol:         bluestein_single_back_len1320_dim1_dp_op_CI_CI.kd
    .uniform_work_group_size: 1
    .uses_dynamic_stack: false
    .vgpr_count:     324
    .vgpr_spill_count: 0
    .wavefront_size: 64
amdhsa.target:   amdgcn-amd-amdhsa--gfx950
amdhsa.version:
  - 1
  - 2
...

	.end_amdgpu_metadata
